;; amdgpu-corpus repo=ROCm/rocFFT kind=compiled arch=gfx1030 opt=O3
	.text
	.amdgcn_target "amdgcn-amd-amdhsa--gfx1030"
	.amdhsa_code_object_version 6
	.protected	fft_rtc_fwd_len1920_factors_10_6_16_2_wgs_240_tpt_120_halfLds_half_op_CI_CI_unitstride_sbrr_R2C_dirReg ; -- Begin function fft_rtc_fwd_len1920_factors_10_6_16_2_wgs_240_tpt_120_halfLds_half_op_CI_CI_unitstride_sbrr_R2C_dirReg
	.globl	fft_rtc_fwd_len1920_factors_10_6_16_2_wgs_240_tpt_120_halfLds_half_op_CI_CI_unitstride_sbrr_R2C_dirReg
	.p2align	8
	.type	fft_rtc_fwd_len1920_factors_10_6_16_2_wgs_240_tpt_120_halfLds_half_op_CI_CI_unitstride_sbrr_R2C_dirReg,@function
fft_rtc_fwd_len1920_factors_10_6_16_2_wgs_240_tpt_120_halfLds_half_op_CI_CI_unitstride_sbrr_R2C_dirReg: ; @fft_rtc_fwd_len1920_factors_10_6_16_2_wgs_240_tpt_120_halfLds_half_op_CI_CI_unitstride_sbrr_R2C_dirReg
; %bb.0:
	s_clause 0x2
	s_load_dwordx4 s[12:15], s[4:5], 0x0
	s_load_dwordx4 s[8:11], s[4:5], 0x58
	;; [unrolled: 1-line block ×3, first 2 shown]
	v_mul_u32_u24_e32 v1, 0x223, v0
	v_mov_b32_e32 v3, 0
	v_mov_b32_e32 v8, 0
	;; [unrolled: 1-line block ×3, first 2 shown]
	v_lshrrev_b32_e32 v7, 16, v1
	v_mov_b32_e32 v11, v3
	v_lshl_add_u32 v10, s6, 1, v7
	s_waitcnt lgkmcnt(0)
	v_cmp_lt_u64_e64 s0, s[14:15], 2
	s_and_b32 vcc_lo, exec_lo, s0
	s_cbranch_vccnz .LBB0_8
; %bb.1:
	s_load_dwordx2 s[0:1], s[4:5], 0x10
	v_mov_b32_e32 v8, 0
	v_mov_b32_e32 v9, 0
	s_add_u32 s2, s18, 8
	s_addc_u32 s3, s19, 0
	v_mov_b32_e32 v1, v8
	s_add_u32 s6, s16, 8
	v_mov_b32_e32 v2, v9
	s_addc_u32 s7, s17, 0
	s_mov_b64 s[22:23], 1
	s_waitcnt lgkmcnt(0)
	s_add_u32 s20, s0, 8
	s_addc_u32 s21, s1, 0
.LBB0_2:                                ; =>This Inner Loop Header: Depth=1
	s_load_dwordx2 s[24:25], s[20:21], 0x0
                                        ; implicit-def: $vgpr5_vgpr6
	s_mov_b32 s0, exec_lo
	s_waitcnt lgkmcnt(0)
	v_or_b32_e32 v4, s25, v11
	v_cmpx_ne_u64_e32 0, v[3:4]
	s_xor_b32 s1, exec_lo, s0
	s_cbranch_execz .LBB0_4
; %bb.3:                                ;   in Loop: Header=BB0_2 Depth=1
	v_cvt_f32_u32_e32 v4, s24
	v_cvt_f32_u32_e32 v5, s25
	s_sub_u32 s0, 0, s24
	s_subb_u32 s26, 0, s25
	v_fmac_f32_e32 v4, 0x4f800000, v5
	v_rcp_f32_e32 v4, v4
	v_mul_f32_e32 v4, 0x5f7ffffc, v4
	v_mul_f32_e32 v5, 0x2f800000, v4
	v_trunc_f32_e32 v5, v5
	v_fmac_f32_e32 v4, 0xcf800000, v5
	v_cvt_u32_f32_e32 v5, v5
	v_cvt_u32_f32_e32 v4, v4
	v_mul_lo_u32 v6, s0, v5
	v_mul_hi_u32 v12, s0, v4
	v_mul_lo_u32 v13, s26, v4
	v_add_nc_u32_e32 v6, v12, v6
	v_mul_lo_u32 v12, s0, v4
	v_add_nc_u32_e32 v6, v6, v13
	v_mul_hi_u32 v13, v4, v12
	v_mul_lo_u32 v14, v4, v6
	v_mul_hi_u32 v15, v4, v6
	v_mul_hi_u32 v16, v5, v12
	v_mul_lo_u32 v12, v5, v12
	v_mul_hi_u32 v17, v5, v6
	v_mul_lo_u32 v6, v5, v6
	v_add_co_u32 v13, vcc_lo, v13, v14
	v_add_co_ci_u32_e32 v14, vcc_lo, 0, v15, vcc_lo
	v_add_co_u32 v12, vcc_lo, v13, v12
	v_add_co_ci_u32_e32 v12, vcc_lo, v14, v16, vcc_lo
	v_add_co_ci_u32_e32 v13, vcc_lo, 0, v17, vcc_lo
	v_add_co_u32 v6, vcc_lo, v12, v6
	v_add_co_ci_u32_e32 v12, vcc_lo, 0, v13, vcc_lo
	v_add_co_u32 v4, vcc_lo, v4, v6
	v_add_co_ci_u32_e32 v5, vcc_lo, v5, v12, vcc_lo
	v_mul_hi_u32 v6, s0, v4
	v_mul_lo_u32 v13, s26, v4
	v_mul_lo_u32 v12, s0, v5
	v_add_nc_u32_e32 v6, v6, v12
	v_mul_lo_u32 v12, s0, v4
	v_add_nc_u32_e32 v6, v6, v13
	v_mul_hi_u32 v13, v4, v12
	v_mul_lo_u32 v14, v4, v6
	v_mul_hi_u32 v15, v4, v6
	v_mul_hi_u32 v16, v5, v12
	v_mul_lo_u32 v12, v5, v12
	v_mul_hi_u32 v17, v5, v6
	v_mul_lo_u32 v6, v5, v6
	v_add_co_u32 v13, vcc_lo, v13, v14
	v_add_co_ci_u32_e32 v14, vcc_lo, 0, v15, vcc_lo
	v_add_co_u32 v12, vcc_lo, v13, v12
	v_add_co_ci_u32_e32 v12, vcc_lo, v14, v16, vcc_lo
	v_add_co_ci_u32_e32 v13, vcc_lo, 0, v17, vcc_lo
	v_add_co_u32 v6, vcc_lo, v12, v6
	v_add_co_ci_u32_e32 v12, vcc_lo, 0, v13, vcc_lo
	v_add_co_u32 v6, vcc_lo, v4, v6
	v_add_co_ci_u32_e32 v14, vcc_lo, v5, v12, vcc_lo
	v_mul_hi_u32 v16, v10, v6
	v_mad_u64_u32 v[12:13], null, v11, v6, 0
	v_mad_u64_u32 v[4:5], null, v10, v14, 0
	v_mad_u64_u32 v[14:15], null, v11, v14, 0
	v_add_co_u32 v4, vcc_lo, v16, v4
	v_add_co_ci_u32_e32 v5, vcc_lo, 0, v5, vcc_lo
	v_add_co_u32 v4, vcc_lo, v4, v12
	v_add_co_ci_u32_e32 v4, vcc_lo, v5, v13, vcc_lo
	v_add_co_ci_u32_e32 v5, vcc_lo, 0, v15, vcc_lo
	v_add_co_u32 v12, vcc_lo, v4, v14
	v_add_co_ci_u32_e32 v6, vcc_lo, 0, v5, vcc_lo
	v_mul_lo_u32 v13, s25, v12
	v_mad_u64_u32 v[4:5], null, s24, v12, 0
	v_mul_lo_u32 v14, s24, v6
	v_sub_co_u32 v4, vcc_lo, v10, v4
	v_add3_u32 v5, v5, v14, v13
	v_sub_nc_u32_e32 v13, v11, v5
	v_subrev_co_ci_u32_e64 v13, s0, s25, v13, vcc_lo
	v_add_co_u32 v14, s0, v12, 2
	v_add_co_ci_u32_e64 v15, s0, 0, v6, s0
	v_sub_co_u32 v16, s0, v4, s24
	v_sub_co_ci_u32_e32 v5, vcc_lo, v11, v5, vcc_lo
	v_subrev_co_ci_u32_e64 v13, s0, 0, v13, s0
	v_cmp_le_u32_e32 vcc_lo, s24, v16
	v_cmp_eq_u32_e64 s0, s25, v5
	v_cndmask_b32_e64 v16, 0, -1, vcc_lo
	v_cmp_le_u32_e32 vcc_lo, s25, v13
	v_cndmask_b32_e64 v17, 0, -1, vcc_lo
	v_cmp_le_u32_e32 vcc_lo, s24, v4
	;; [unrolled: 2-line block ×3, first 2 shown]
	v_cndmask_b32_e64 v18, 0, -1, vcc_lo
	v_cmp_eq_u32_e32 vcc_lo, s25, v13
	v_cndmask_b32_e64 v4, v18, v4, s0
	v_cndmask_b32_e32 v13, v17, v16, vcc_lo
	v_add_co_u32 v16, vcc_lo, v12, 1
	v_add_co_ci_u32_e32 v17, vcc_lo, 0, v6, vcc_lo
	v_cmp_ne_u32_e32 vcc_lo, 0, v13
	v_cndmask_b32_e32 v5, v17, v15, vcc_lo
	v_cndmask_b32_e32 v13, v16, v14, vcc_lo
	v_cmp_ne_u32_e32 vcc_lo, 0, v4
	v_cndmask_b32_e32 v6, v6, v5, vcc_lo
	v_cndmask_b32_e32 v5, v12, v13, vcc_lo
.LBB0_4:                                ;   in Loop: Header=BB0_2 Depth=1
	s_andn2_saveexec_b32 s0, s1
	s_cbranch_execz .LBB0_6
; %bb.5:                                ;   in Loop: Header=BB0_2 Depth=1
	v_cvt_f32_u32_e32 v4, s24
	s_sub_i32 s1, 0, s24
	v_rcp_iflag_f32_e32 v4, v4
	v_mul_f32_e32 v4, 0x4f7ffffe, v4
	v_cvt_u32_f32_e32 v4, v4
	v_mul_lo_u32 v5, s1, v4
	v_mul_hi_u32 v5, v4, v5
	v_add_nc_u32_e32 v4, v4, v5
	v_mul_hi_u32 v4, v10, v4
	v_mul_lo_u32 v5, v4, s24
	v_add_nc_u32_e32 v6, 1, v4
	v_sub_nc_u32_e32 v5, v10, v5
	v_subrev_nc_u32_e32 v12, s24, v5
	v_cmp_le_u32_e32 vcc_lo, s24, v5
	v_cndmask_b32_e32 v5, v5, v12, vcc_lo
	v_cndmask_b32_e32 v4, v4, v6, vcc_lo
	v_cmp_le_u32_e32 vcc_lo, s24, v5
	v_add_nc_u32_e32 v6, 1, v4
	v_cndmask_b32_e32 v5, v4, v6, vcc_lo
	v_mov_b32_e32 v6, v3
.LBB0_6:                                ;   in Loop: Header=BB0_2 Depth=1
	s_or_b32 exec_lo, exec_lo, s0
	v_mul_lo_u32 v4, v6, s24
	v_mul_lo_u32 v14, v5, s25
	s_load_dwordx2 s[0:1], s[6:7], 0x0
	v_mad_u64_u32 v[12:13], null, v5, s24, 0
	s_load_dwordx2 s[24:25], s[2:3], 0x0
	s_add_u32 s22, s22, 1
	s_addc_u32 s23, s23, 0
	s_add_u32 s2, s2, 8
	s_addc_u32 s3, s3, 0
	s_add_u32 s6, s6, 8
	v_add3_u32 v4, v13, v14, v4
	v_sub_co_u32 v10, vcc_lo, v10, v12
	s_addc_u32 s7, s7, 0
	s_add_u32 s20, s20, 8
	v_sub_co_ci_u32_e32 v4, vcc_lo, v11, v4, vcc_lo
	s_addc_u32 s21, s21, 0
	s_waitcnt lgkmcnt(0)
	v_mul_lo_u32 v11, s0, v4
	v_mul_lo_u32 v12, s1, v10
	v_mad_u64_u32 v[8:9], null, s0, v10, v[8:9]
	v_mul_lo_u32 v4, s24, v4
	v_mul_lo_u32 v13, s25, v10
	v_mad_u64_u32 v[1:2], null, s24, v10, v[1:2]
	v_cmp_ge_u64_e64 s0, s[22:23], s[14:15]
	v_add3_u32 v9, v12, v9, v11
	v_add3_u32 v2, v13, v2, v4
	s_and_b32 vcc_lo, exec_lo, s0
	s_cbranch_vccnz .LBB0_9
; %bb.7:                                ;   in Loop: Header=BB0_2 Depth=1
	v_mov_b32_e32 v11, v6
	v_mov_b32_e32 v10, v5
	s_branch .LBB0_2
.LBB0_8:
	v_mov_b32_e32 v1, v8
	v_mov_b32_e32 v5, v10
	;; [unrolled: 1-line block ×4, first 2 shown]
.LBB0_9:
	s_load_dwordx2 s[0:1], s[4:5], 0x28
	v_and_b32_e32 v3, 1, v7
	v_mul_hi_u32 v4, 0x2222223, v0
	s_lshl_b64 s[4:5], s[14:15], 3
                                        ; implicit-def: $vgpr7
	s_add_u32 s2, s18, s4
	s_addc_u32 s3, s19, s5
	s_waitcnt lgkmcnt(0)
	v_cmp_gt_u64_e32 vcc_lo, s[0:1], v[5:6]
	v_cmp_le_u64_e64 s1, s[0:1], v[5:6]
	v_cmp_eq_u32_e64 s0, 1, v3
                                        ; implicit-def: $vgpr3
	s_and_saveexec_b32 s6, s1
	s_xor_b32 s1, exec_lo, s6
; %bb.10:
	v_mul_u32_u24_e32 v3, 0x78, v4
                                        ; implicit-def: $vgpr4
                                        ; implicit-def: $vgpr8_vgpr9
	v_sub_nc_u32_e32 v3, v0, v3
                                        ; implicit-def: $vgpr0
	v_add_nc_u32_e32 v7, 0x78, v3
; %bb.11:
	s_or_saveexec_b32 s1, s1
	v_cndmask_b32_e64 v10, 0, 0x781, s0
	v_lshlrev_b32_e32 v27, 2, v10
	s_xor_b32 exec_lo, exec_lo, s1
	s_cbranch_execz .LBB0_13
; %bb.12:
	s_add_u32 s4, s16, s4
	s_addc_u32 s5, s17, s5
	s_load_dwordx2 s[4:5], s[4:5], 0x0
	s_waitcnt lgkmcnt(0)
	v_mul_lo_u32 v3, s5, v5
	v_mul_lo_u32 v7, s4, v6
	v_mad_u64_u32 v[10:11], null, s4, v5, 0
	v_add3_u32 v11, v11, v7, v3
	v_mul_u32_u24_e32 v3, 0x78, v4
	v_lshlrev_b64 v[7:8], 2, v[8:9]
	v_lshlrev_b64 v[10:11], 2, v[10:11]
	v_sub_nc_u32_e32 v3, v0, v3
	v_lshlrev_b32_e32 v15, 2, v3
	v_add_co_u32 v0, s0, s8, v10
	v_add_co_ci_u32_e64 v4, s0, s9, v11, s0
	v_add_co_u32 v0, s0, v0, v7
	v_add_co_ci_u32_e64 v4, s0, v4, v8, s0
	v_add_co_u32 v7, s0, v0, v15
	v_add_co_ci_u32_e64 v8, s0, 0, v4, s0
	v_add_co_u32 v9, s0, 0x800, v7
	v_add_co_ci_u32_e64 v10, s0, 0, v8, s0
	v_add_co_u32 v11, s0, 0x1000, v7
	v_add_co_ci_u32_e64 v12, s0, 0, v8, s0
	v_add_co_u32 v13, s0, 0x1800, v7
	v_add_co_ci_u32_e64 v14, s0, 0, v8, s0
	s_clause 0xf
	global_load_dword v0, v[7:8], off
	global_load_dword v4, v[7:8], off offset:480
	global_load_dword v16, v[7:8], off offset:960
	;; [unrolled: 1-line block ×15, first 2 shown]
	v_add3_u32 v14, 0, v27, v15
	v_add_nc_u32_e32 v7, 0x78, v3
	v_add_nc_u32_e32 v15, 0x200, v14
	;; [unrolled: 1-line block ×8, first 2 shown]
	s_waitcnt vmcnt(14)
	ds_write2_b32 v14, v0, v4 offset1:120
	s_waitcnt vmcnt(12)
	ds_write2_b32 v15, v16, v17 offset0:112 offset1:232
	s_waitcnt vmcnt(10)
	ds_write2_b32 v24, v8, v18 offset0:96 offset1:216
	;; [unrolled: 2-line block ×7, first 2 shown]
.LBB0_13:
	s_or_b32 exec_lo, exec_lo, s1
	v_lshlrev_b32_e32 v25, 2, v3
	s_load_dwordx2 s[2:3], s[2:3], 0x0
	s_waitcnt lgkmcnt(0)
	s_barrier
	buffer_gl0_inv
	v_add_nc_u32_e32 v0, 0, v25
	s_mov_b32 s1, exec_lo
	v_add_nc_u32_e32 v26, v0, v27
	v_add_nc_u32_e32 v0, 0x600, v26
	;; [unrolled: 1-line block ×5, first 2 shown]
	ds_read2_b32 v[31:32], v26 offset0:120 offset1:192
	ds_read2_b32 v[38:39], v0 offset0:120 offset1:192
	ds_read2_b32 v[40:41], v4 offset0:120 offset1:192
	ds_read2_b32 v[42:43], v8 offset0:120 offset1:192
	ds_read2_b32 v[13:14], v15 offset0:120 offset1:192
	v_add_nc_u32_e32 v16, 0x400, v26
	v_add_nc_u32_e32 v4, 0xa00, v26
	;; [unrolled: 1-line block ×4, first 2 shown]
	ds_read2_b32 v[10:11], v16 offset0:56 offset1:128
	ds_read2_b32 v[29:30], v4 offset0:56 offset1:128
	;; [unrolled: 1-line block ×4, first 2 shown]
	v_add_nc_u32_e32 v0, 0, v27
	v_add_nc_u32_e32 v24, v0, v25
	s_waitcnt lgkmcnt(8)
	v_lshrrev_b32_e32 v17, 16, v31
	s_waitcnt lgkmcnt(7)
	v_pk_add_f16 v23, v31, v38
	s_waitcnt lgkmcnt(6)
	v_sub_f16_e32 v19, v38, v40
	s_waitcnt lgkmcnt(5)
	v_add_f16_e32 v4, v40, v42
	s_waitcnt lgkmcnt(4)
	v_sub_f16_sdwa v8, v38, v13 dst_sel:DWORD dst_unused:UNUSED_PAD src0_sel:WORD_1 src1_sel:WORD_1
	v_sub_f16_e32 v12, v13, v42
	v_add_f16_e32 v20, v38, v13
	v_sub_f16_sdwa v9, v40, v42 dst_sel:DWORD dst_unused:UNUSED_PAD src0_sel:WORD_1 src1_sel:WORD_1
	v_fma_f16 v18, -0.5, v4, v31
	v_sub_f16_e32 v21, v42, v13
	v_add_f16_e32 v4, v19, v12
	v_fma_f16 v19, -0.5, v20, v31
	v_sub_f16_e32 v22, v40, v38
	v_fmamk_f16 v20, v8, 0x3b9c, v18
	v_fmac_f16_e32 v18, 0xbb9c, v8
	v_add_f16_sdwa v28, v40, v42 dst_sel:DWORD dst_unused:UNUSED_PAD src0_sel:WORD_1 src1_sel:WORD_1
	v_fmamk_f16 v48, v9, 0xbb9c, v19
	v_fmac_f16_e32 v19, 0x3b9c, v9
	v_fmac_f16_e32 v20, 0x38b4, v9
	;; [unrolled: 1-line block ×3, first 2 shown]
	ds_read_b32 v9, v26 offset:7392
	v_sub_f16_e32 v33, v38, v13
	v_add_f16_e32 v12, v22, v21
	v_pk_add_f16 v22, v23, v40
	v_fma_f16 v21, -0.5, v28, v17
	v_fmac_f16_e32 v20, 0x34f2, v4
	v_fmac_f16_e32 v18, 0x34f2, v4
	v_add_f16_sdwa v4, v38, v13 dst_sel:DWORD dst_unused:UNUSED_PAD src0_sel:WORD_1 src1_sel:WORD_1
	v_sub_f16_e32 v34, v40, v42
	v_sub_f16_sdwa v35, v38, v40 dst_sel:DWORD dst_unused:UNUSED_PAD src0_sel:WORD_1 src1_sel:WORD_1
	v_sub_f16_sdwa v36, v13, v42 dst_sel:DWORD dst_unused:UNUSED_PAD src0_sel:WORD_1 src1_sel:WORD_1
	v_pk_add_f16 v23, v22, v42
	v_fmamk_f16 v22, v33, 0xbb9c, v21
	v_fmac_f16_e32 v21, 0x3b9c, v33
	v_fmac_f16_e32 v17, -0.5, v4
	s_waitcnt lgkmcnt(1)
	v_add_f16_e32 v4, v44, v46
	v_fmac_f16_e32 v48, 0x38b4, v8
	v_fmac_f16_e32 v19, 0xb8b4, v8
	;; [unrolled: 1-line block ×3, first 2 shown]
	v_add_f16_e32 v8, v35, v36
	v_pk_add_f16 v23, v23, v13
	v_fmac_f16_e32 v21, 0x38b4, v34
	v_sub_f16_sdwa v28, v40, v38 dst_sel:DWORD dst_unused:UNUSED_PAD src0_sel:WORD_1 src1_sel:WORD_1
	ds_read_b32 v40, v24
	v_sub_f16_sdwa v13, v42, v13 dst_sel:DWORD dst_unused:UNUSED_PAD src0_sel:WORD_1 src1_sel:WORD_1
	v_fma_f16 v31, -0.5, v4, v10
	s_waitcnt lgkmcnt(1)
	v_sub_f16_sdwa v4, v29, v9 dst_sel:DWORD dst_unused:UNUSED_PAD src0_sel:WORD_1 src1_sel:WORD_1
	v_fmac_f16_e32 v48, 0x34f2, v12
	v_fmac_f16_e32 v19, 0x34f2, v12
	;; [unrolled: 1-line block ×3, first 2 shown]
	v_fmamk_f16 v12, v34, 0x3b9c, v17
	v_fmac_f16_e32 v21, 0x34f2, v8
	v_add_f16_e32 v8, v28, v13
	v_fmac_f16_e32 v17, 0xbb9c, v34
	v_fmamk_f16 v13, v4, 0x3b9c, v31
	v_sub_f16_sdwa v28, v44, v46 dst_sel:DWORD dst_unused:UNUSED_PAD src0_sel:WORD_1 src1_sel:WORD_1
	v_sub_f16_e32 v34, v9, v46
	v_add_f16_e32 v35, v29, v9
	v_sub_f16_e32 v36, v29, v44
	v_fmac_f16_e32 v31, 0xbb9c, v4
	v_fmac_f16_e32 v12, 0xb8b4, v33
	;; [unrolled: 1-line block ×4, first 2 shown]
	v_fma_f16 v37, -0.5, v35, v10
	v_add_f16_e32 v33, v36, v34
	v_fmac_f16_e32 v31, 0xb8b4, v28
	v_fmac_f16_e32 v12, 0x34f2, v8
	;; [unrolled: 1-line block ×3, first 2 shown]
	v_fmamk_f16 v35, v28, 0xbb9c, v37
	v_fmac_f16_e32 v13, 0x34f2, v33
	v_fmac_f16_e32 v31, 0x34f2, v33
	v_sub_f16_e32 v8, v46, v9
	v_sub_f16_e32 v33, v44, v29
	v_fmac_f16_e32 v37, 0x3b9c, v28
	v_fmac_f16_e32 v35, 0x38b4, v4
	v_add_f16_sdwa v28, v44, v46 dst_sel:DWORD dst_unused:UNUSED_PAD src0_sel:WORD_1 src1_sel:WORD_1
	v_lshrrev_b32_e32 v38, 16, v10
	v_add_f16_e32 v8, v33, v8
	v_add_f16_sdwa v33, v29, v9 dst_sel:DWORD dst_unused:UNUSED_PAD src0_sel:WORD_1 src1_sel:WORD_1
	v_fmac_f16_e32 v37, 0xb8b4, v4
	v_pk_add_f16 v4, v10, v29
	v_fma_f16 v42, -0.5, v28, v38
	v_sub_f16_e32 v10, v44, v46
	v_fmac_f16_e32 v38, -0.5, v33
	v_fmac_f16_e32 v35, 0x34f2, v8
	v_fmac_f16_e32 v37, 0x34f2, v8
	v_sub_f16_e32 v8, v29, v9
	v_sub_f16_sdwa v28, v44, v29 dst_sel:DWORD dst_unused:UNUSED_PAD src0_sel:WORD_1 src1_sel:WORD_1
	v_fmamk_f16 v49, v10, 0x3b9c, v38
	v_sub_f16_sdwa v33, v46, v9 dst_sel:DWORD dst_unused:UNUSED_PAD src0_sel:WORD_1 src1_sel:WORD_1
	v_sub_f16_sdwa v29, v29, v44 dst_sel:DWORD dst_unused:UNUSED_PAD src0_sel:WORD_1 src1_sel:WORD_1
	v_fmamk_f16 v50, v8, 0xbb9c, v42
	v_sub_f16_sdwa v34, v9, v46 dst_sel:DWORD dst_unused:UNUSED_PAD src0_sel:WORD_1 src1_sel:WORD_1
	v_fmac_f16_e32 v38, 0xbb9c, v10
	v_fmac_f16_e32 v42, 0x3b9c, v8
	v_pk_add_f16 v4, v4, v44
	v_fmac_f16_e32 v49, 0xb8b4, v8
	v_add_f16_e32 v28, v28, v33
	v_fmac_f16_e32 v50, 0xb8b4, v10
	v_add_f16_e32 v29, v29, v34
	v_fmac_f16_e32 v38, 0x38b4, v8
	v_fmac_f16_e32 v42, 0x38b4, v10
	;; [unrolled: 1-line block ×3, first 2 shown]
	v_pk_add_f16 v4, v4, v46
	v_fmac_f16_e32 v50, 0x34f2, v29
	v_fmac_f16_e32 v38, 0x34f2, v28
	;; [unrolled: 1-line block ×3, first 2 shown]
	v_mul_f16_e32 v29, 0xbb9c, v35
	v_add_f16_e32 v10, v30, v45
	v_mul_f16_e32 v44, 0x3b9c, v49
	v_mul_f16_e32 v8, 0x34f2, v37
	;; [unrolled: 1-line block ×3, first 2 shown]
	v_pk_add_f16 v28, v4, v9
	v_mul_f16_e32 v4, 0x3a79, v31
	v_mul_f16_e32 v36, 0xb8b4, v13
	v_fmac_f16_e32 v29, 0x34f2, v49
	v_mul_f16_e32 v13, 0x34f2, v38
	s_waitcnt lgkmcnt(0)
	v_fma_f16 v46, -0.5, v10, v40
	v_sub_f16_sdwa v49, v11, v47 dst_sel:DWORD dst_unused:UNUSED_PAD src0_sel:WORD_1 src1_sel:WORD_1
	v_add_f16_e32 v52, v11, v47
	v_fmac_f16_e32 v44, 0x34f2, v35
	v_fma_f16 v34, v38, 0x3b9c, -v8
	v_fmac_f16_e32 v33, 0x38b4, v50
	v_fma_f16 v35, v42, 0x38b4, -v4
	;; [unrolled: 2-line block ×3, first 2 shown]
	v_fmamk_f16 v50, v49, 0x3b9c, v46
	v_sub_f16_sdwa v13, v30, v45 dst_sel:DWORD dst_unused:UNUSED_PAD src0_sel:WORD_1 src1_sel:WORD_1
	v_sub_f16_e32 v38, v47, v45
	v_sub_f16_e32 v51, v11, v30
	v_fmac_f16_e32 v46, 0xbb9c, v49
	v_mul_f16_e32 v42, 0x3a79, v42
	v_fma_f16 v52, -0.5, v52, v40
	v_add_f16_e32 v4, v12, v29
	v_fmac_f16_e32 v50, 0x38b4, v13
	v_add_f16_e32 v51, v51, v38
	v_fmac_f16_e32 v46, 0xb8b4, v13
	v_fma_f16 v38, v31, 0xb8b4, -v42
	v_sub_f16_e32 v29, v12, v29
	v_fmamk_f16 v42, v13, 0xbb9c, v52
	v_sub_f16_e32 v12, v45, v47
	v_sub_f16_e32 v31, v30, v11
	v_fmac_f16_e32 v52, 0x3b9c, v13
	v_fmac_f16_e32 v50, 0x34f2, v51
	;; [unrolled: 1-line block ×3, first 2 shown]
	v_add_f16_sdwa v13, v30, v45 dst_sel:DWORD dst_unused:UNUSED_PAD src0_sel:WORD_1 src1_sel:WORD_1
	v_lshrrev_b32_e32 v51, 16, v40
	v_fmac_f16_e32 v42, 0x38b4, v49
	v_add_f16_e32 v12, v31, v12
	v_fmac_f16_e32 v52, 0xb8b4, v49
	v_pk_add_f16 v31, v40, v11
	v_fma_f16 v40, -0.5, v13, v51
	v_sub_f16_e32 v49, v11, v47
	v_sub_f16_sdwa v13, v11, v30 dst_sel:DWORD dst_unused:UNUSED_PAD src0_sel:WORD_1 src1_sel:WORD_1
	v_fmac_f16_e32 v42, 0x34f2, v12
	v_fmac_f16_e32 v52, 0x34f2, v12
	v_pk_add_f16 v12, v31, v30
	v_sub_f16_sdwa v56, v30, v11 dst_sel:DWORD dst_unused:UNUSED_PAD src0_sel:WORD_1 src1_sel:WORD_1
	v_add_f16_sdwa v11, v11, v47 dst_sel:DWORD dst_unused:UNUSED_PAD src0_sel:WORD_1 src1_sel:WORD_1
	v_sub_f16_sdwa v53, v47, v45 dst_sel:DWORD dst_unused:UNUSED_PAD src0_sel:WORD_1 src1_sel:WORD_1
	v_fmamk_f16 v54, v49, 0xbb9c, v40
	v_sub_f16_e32 v55, v30, v45
	v_pk_add_f16 v12, v12, v45
	v_fmac_f16_e32 v40, 0x3b9c, v49
	v_fmac_f16_e32 v51, -0.5, v11
	v_add_f16_e32 v11, v41, v43
	v_add_f16_e32 v8, v48, v44
	;; [unrolled: 1-line block ×3, first 2 shown]
	v_fmac_f16_e32 v54, 0xb8b4, v55
	v_sub_f16_e32 v13, v48, v44
	v_pk_add_f16 v44, v12, v47
	v_fmac_f16_e32 v40, 0x38b4, v55
	v_sub_f16_sdwa v12, v45, v47 dst_sel:DWORD dst_unused:UNUSED_PAD src0_sel:WORD_1 src1_sel:WORD_1
	v_fmamk_f16 v45, v55, 0x3b9c, v51
	v_fmac_f16_e32 v51, 0xbb9c, v55
	v_fma_f16 v47, -0.5, v11, v32
	v_sub_f16_sdwa v48, v39, v14 dst_sel:DWORD dst_unused:UNUSED_PAD src0_sel:WORD_1 src1_sel:WORD_1
	v_fmac_f16_e32 v54, 0x34f2, v53
	v_fmac_f16_e32 v40, 0x34f2, v53
	;; [unrolled: 1-line block ×3, first 2 shown]
	v_add_f16_e32 v11, v56, v12
	v_fmac_f16_e32 v51, 0x38b4, v49
	v_fmamk_f16 v49, v48, 0x3b9c, v47
	v_sub_f16_sdwa v53, v41, v43 dst_sel:DWORD dst_unused:UNUSED_PAD src0_sel:WORD_1 src1_sel:WORD_1
	v_sub_f16_e32 v55, v14, v43
	v_sub_f16_e32 v56, v39, v41
	v_fmac_f16_e32 v47, 0xbb9c, v48
	v_add_f16_e32 v57, v39, v14
	v_fmac_f16_e32 v49, 0x38b4, v53
	v_sub_f16_e32 v58, v41, v39
	v_add_f16_e32 v55, v56, v55
	v_fmac_f16_e32 v47, 0xb8b4, v53
	v_fma_f16 v56, -0.5, v57, v32
	v_sub_f16_e32 v57, v43, v14
	v_sub_f16_e32 v59, v41, v43
	v_fmac_f16_e32 v49, 0x34f2, v55
	v_fmac_f16_e32 v47, 0x34f2, v55
	v_fmamk_f16 v55, v53, 0xbb9c, v56
	v_fmac_f16_e32 v56, 0x3b9c, v53
	v_pk_add_f16 v53, v32, v39
	v_add_f16_e32 v57, v58, v57
	v_lshrrev_b32_e32 v58, 16, v32
	v_fmac_f16_e32 v55, 0x38b4, v48
	v_fmac_f16_e32 v56, 0xb8b4, v48
	v_pk_add_f16 v48, v53, v41
	v_add_f16_sdwa v53, v41, v43 dst_sel:DWORD dst_unused:UNUSED_PAD src0_sel:WORD_1 src1_sel:WORD_1
	v_add_f16_sdwa v32, v39, v14 dst_sel:DWORD dst_unused:UNUSED_PAD src0_sel:WORD_1 src1_sel:WORD_1
	v_fmac_f16_e32 v55, 0x34f2, v57
	v_fmac_f16_e32 v56, 0x34f2, v57
	v_sub_f16_e32 v57, v39, v14
	v_fma_f16 v53, -0.5, v53, v58
	v_fmac_f16_e32 v58, -0.5, v32
	v_sub_f16_sdwa v60, v39, v41 dst_sel:DWORD dst_unused:UNUSED_PAD src0_sel:WORD_1 src1_sel:WORD_1
	v_sub_f16_sdwa v39, v41, v39 dst_sel:DWORD dst_unused:UNUSED_PAD src0_sel:WORD_1 src1_sel:WORD_1
	;; [unrolled: 1-line block ×3, first 2 shown]
	v_pk_add_f16 v48, v48, v43
	v_fmamk_f16 v62, v59, 0x3b9c, v58
	v_fmac_f16_e32 v58, 0xbb9c, v59
	v_fmamk_f16 v61, v57, 0xbb9c, v53
	v_add_f16_e32 v39, v39, v41
	v_sub_f16_sdwa v43, v14, v43 dst_sel:DWORD dst_unused:UNUSED_PAD src0_sel:WORD_1 src1_sel:WORD_1
	v_fmac_f16_e32 v62, 0xb8b4, v57
	v_fmac_f16_e32 v53, 0x3b9c, v57
	v_fmac_f16_e32 v58, 0x38b4, v57
	v_fmac_f16_e32 v61, 0xb8b4, v59
	v_add_f16_e32 v43, v60, v43
	v_fmac_f16_e32 v62, 0x34f2, v39
	v_fmac_f16_e32 v53, 0x38b4, v59
	;; [unrolled: 1-line block ×3, first 2 shown]
	v_mul_f16_e32 v39, 0x34f2, v56
	v_fmac_f16_e32 v61, 0x34f2, v43
	v_mul_f16_e32 v57, 0x3b9c, v62
	v_fmac_f16_e32 v53, 0x34f2, v43
	v_mul_f16_e32 v43, 0x3a79, v47
	v_pk_add_f16 v14, v48, v14
	v_mul_f16_e32 v48, 0x3a79, v49
	v_fmac_f16_e32 v57, 0x34f2, v55
	v_fma_f16 v39, v58, 0x3b9c, -v39
	v_mul_f16_e32 v49, 0xb8b4, v49
	v_mul_f16_e32 v55, 0xbb9c, v55
	v_mul_f16_e32 v58, 0x34f2, v58
	v_fma_f16 v43, v53, 0x38b4, -v43
	v_mul_f16_e32 v53, 0x3a79, v53
	v_fmac_f16_e32 v45, 0x34f2, v11
	v_fmac_f16_e32 v51, 0x34f2, v11
	;; [unrolled: 1-line block ×5, first 2 shown]
	v_fma_f16 v56, v56, 0xbb9c, -v58
	v_fma_f16 v47, v47, 0xb8b4, -v53
	v_add_f16_e32 v59, v50, v48
	v_add_f16_e32 v60, v42, v57
	;; [unrolled: 1-line block ×5, first 2 shown]
	v_sub_f16_e32 v48, v50, v48
	v_add_f16_e32 v50, v51, v56
	v_add_f16_e32 v61, v46, v43
	v_sub_f16_e32 v42, v42, v57
	v_add_f16_e32 v57, v40, v47
	v_sub_f16_e32 v43, v46, v43
	v_sub_f16_e32 v46, v54, v49
	v_sub_f16_e32 v45, v45, v55
	v_sub_f16_e32 v39, v52, v39
	v_sub_f16_e32 v49, v51, v56
	v_sub_f16_e32 v40, v40, v47
	v_add_f16_e32 v9, v19, v34
	v_add_f16_e32 v10, v18, v35
	;; [unrolled: 1-line block ×4, first 2 shown]
	v_sub_f16_e32 v12, v20, v33
	v_pk_add_f16 v11, v23, v28 neg_lo:[0,1] neg_hi:[0,1]
	v_sub_f16_e32 v32, v22, v36
	v_mad_u32_u24 v41, v3, 36, v26
	v_pk_add_f16 v62, v44, v14
	v_pack_b32_f16 v51, v59, v58
	v_pack_b32_f16 v47, v63, v50
	;; [unrolled: 1-line block ×3, first 2 shown]
	v_pk_add_f16 v14, v44, v14 neg_lo:[0,1] neg_hi:[0,1]
	v_pack_b32_f16 v44, v61, v57
	v_pack_b32_f16 v46, v48, v46
	;; [unrolled: 1-line block ×5, first 2 shown]
	s_barrier
	buffer_gl0_inv
	ds_write2_b32 v41, v62, v51 offset1:1
	ds_write2_b32 v41, v50, v47 offset0:2 offset1:3
	ds_write2_b32 v41, v44, v14 offset0:4 offset1:5
	;; [unrolled: 1-line block ×4, first 2 shown]
	v_cmpx_gt_u32_e32 0x48, v3
	s_cbranch_execz .LBB0_15
; %bb.14:
	v_mul_i32_i24_e32 v14, 10, v7
	v_add_f16_e32 v22, v22, v36
	v_add_f16_e32 v20, v20, v33
	v_sub_f16_e32 v21, v21, v38
	v_sub_f16_e32 v17, v17, v37
	v_lshlrev_b32_e32 v14, 2, v14
	v_sub_f16_e32 v18, v18, v35
	v_sub_f16_e32 v19, v19, v34
	v_pk_add_f16 v23, v23, v28
	v_pack_b32_f16 v20, v20, v22
	v_add3_u32 v14, 0, v14, v27
	v_perm_b32 v22, v30, v9, 0x5040100
	v_perm_b32 v28, v4, v8, 0x5040100
	;; [unrolled: 1-line block ×5, first 2 shown]
	v_pack_b32_f16 v18, v18, v21
	v_pack_b32_f16 v17, v19, v17
	ds_write2_b32 v14, v23, v20 offset1:1
	ds_write2_b32 v14, v28, v22 offset0:2 offset1:3
	ds_write2_b32 v14, v33, v11 offset0:4 offset1:5
	;; [unrolled: 1-line block ×4, first 2 shown]
.LBB0_15:
	s_or_b32 exec_lo, exec_lo, s1
	v_lshlrev_b32_e32 v17, 2, v7
	v_add_nc_u32_e32 v20, 0xe00, v26
	v_add_nc_u32_e32 v14, 0x800, v26
	;; [unrolled: 1-line block ×3, first 2 shown]
	s_waitcnt lgkmcnt(0)
	v_add3_u32 v28, 0, v17, v27
	s_barrier
	buffer_gl0_inv
	ds_read2_b32 v[22:23], v16 offset0:64 offset1:184
	ds_read2_b32 v[18:19], v14 offset0:128 offset1:248
	;; [unrolled: 1-line block ×3, first 2 shown]
	ds_read2_b32 v[16:17], v33 offset1:120
	ds_read2_b32 v[14:15], v15 offset0:64 offset1:184
	ds_read_b32 v34, v24
	ds_read_b32 v33, v28
	v_cmp_gt_u32_e64 s0, 0x50, v3
	s_and_saveexec_b32 s1, s0
	s_cbranch_execz .LBB0_17
; %bb.16:
	v_add_nc_u32_e32 v4, 0xc0, v26
	ds_read2st64_b32 v[8:9], v4 offset0:3 offset1:8
	ds_read2st64_b32 v[10:11], v4 offset0:13 offset1:18
	;; [unrolled: 1-line block ×3, first 2 shown]
	s_waitcnt lgkmcnt(2)
	v_lshrrev_b32_e32 v4, 16, v8
	v_lshrrev_b32_e32 v30, 16, v9
	s_waitcnt lgkmcnt(1)
	v_lshrrev_b32_e32 v31, 16, v10
	s_waitcnt lgkmcnt(0)
	v_lshrrev_b32_e32 v32, 16, v12
	v_lshrrev_b32_e32 v29, 16, v13
.LBB0_17:
	s_or_b32 exec_lo, exec_lo, s1
	v_and_b32_e32 v35, 0xff, v3
	v_and_b32_e32 v36, 0xff, v7
	v_mov_b32_e32 v38, 5
	s_waitcnt lgkmcnt(5)
	v_lshrrev_b32_e32 v54, 16, v18
	s_waitcnt lgkmcnt(4)
	v_lshrrev_b32_e32 v55, 16, v20
	v_mul_lo_u16 v35, 0xcd, v35
	v_mul_lo_u16 v36, 0xcd, v36
	s_waitcnt lgkmcnt(3)
	v_lshrrev_b32_e32 v57, 16, v16
	s_waitcnt lgkmcnt(2)
	v_lshrrev_b32_e32 v58, 16, v14
	v_lshrrev_b32_e32 v52, 16, v15
	v_lshrrev_b16 v35, 11, v35
	v_lshrrev_b16 v44, 11, v36
	v_lshrrev_b32_e32 v53, 16, v22
	v_lshrrev_b32_e32 v61, 16, v21
	;; [unrolled: 1-line block ×3, first 2 shown]
	v_mul_lo_u16 v37, v35, 10
	v_mul_lo_u16 v36, v44, 10
	v_and_b32_e32 v56, 0xffff, v35
	v_and_b32_e32 v44, 0xffff, v44
	v_mov_b32_e32 v35, 2
	v_sub_nc_u16 v45, v3, v37
	v_sub_nc_u16 v46, v7, v36
	v_mad_u32_u24 v56, 0xf0, v56, 0
	v_mad_u32_u24 v44, 0xf0, v44, 0
	v_lshrrev_b32_e32 v60, 16, v19
	v_mul_u32_u24_sdwa v37, v45, v38 dst_sel:DWORD dst_unused:UNUSED_PAD src0_sel:BYTE_0 src1_sel:DWORD
	v_mul_u32_u24_sdwa v41, v46, v38 dst_sel:DWORD dst_unused:UNUSED_PAD src0_sel:BYTE_0 src1_sel:DWORD
	v_lshlrev_b32_sdwa v45, v35, v45 dst_sel:DWORD dst_unused:UNUSED_PAD src0_sel:DWORD src1_sel:BYTE_0
	v_lshlrev_b32_sdwa v46, v35, v46 dst_sel:DWORD dst_unused:UNUSED_PAD src0_sel:DWORD src1_sel:BYTE_0
	v_lshrrev_b32_e32 v51, 16, v17
	v_lshlrev_b32_e32 v40, 2, v37
	v_lshlrev_b32_e32 v47, 2, v41
	v_add3_u32 v45, v56, v45, v27
	v_add3_u32 v44, v44, v46, v27
	s_waitcnt lgkmcnt(1)
	v_lshrrev_b32_e32 v49, 16, v34
	s_clause 0x3
	global_load_dwordx4 v[36:39], v40, s[12:13]
	global_load_dword v48, v40, s[12:13] offset:16
	global_load_dwordx4 v[40:43], v47, s[12:13]
	global_load_dword v47, v47, s[12:13] offset:16
	s_waitcnt lgkmcnt(0)
	v_lshrrev_b32_e32 v50, 16, v33
	s_waitcnt vmcnt(0)
	s_barrier
	buffer_gl0_inv
	v_mul_f16_sdwa v68, v48, v58 dst_sel:DWORD dst_unused:UNUSED_PAD src0_sel:WORD_1 src1_sel:DWORD
	v_mul_f16_sdwa v62, v37, v54 dst_sel:DWORD dst_unused:UNUSED_PAD src0_sel:WORD_1 src1_sel:DWORD
	;; [unrolled: 1-line block ×13, first 2 shown]
	v_mul_f16_sdwa v77, v17, v43 dst_sel:DWORD dst_unused:UNUSED_PAD src0_sel:DWORD src1_sel:WORD_1
	v_mul_f16_sdwa v78, v52, v47 dst_sel:DWORD dst_unused:UNUSED_PAD src0_sel:DWORD src1_sel:WORD_1
	;; [unrolled: 1-line block ×3, first 2 shown]
	v_mul_f16_sdwa v70, v40, v59 dst_sel:DWORD dst_unused:UNUSED_PAD src0_sel:WORD_1 src1_sel:DWORD
	v_mul_f16_sdwa v71, v40, v23 dst_sel:DWORD dst_unused:UNUSED_PAD src0_sel:WORD_1 src1_sel:DWORD
	;; [unrolled: 1-line block ×3, first 2 shown]
	v_fma_f16 v18, v37, v18, -v62
	v_fmac_f16_e32 v63, v37, v54
	v_fma_f16 v20, v38, v20, -v64
	v_fmac_f16_e32 v65, v38, v55
	;; [unrolled: 2-line block ×4, first 2 shown]
	v_mul_f16_sdwa v76, v51, v43 dst_sel:DWORD dst_unused:UNUSED_PAD src0_sel:DWORD src1_sel:WORD_1
	v_fma_f16 v22, v36, v22, -v46
	v_fmac_f16_e32 v56, v36, v53
	v_fmac_f16_e32 v73, v41, v60
	v_fma_f16 v21, v42, v21, -v74
	v_fmac_f16_e32 v75, v42, v61
	v_fmac_f16_e32 v77, v51, v43
	v_fma_f16 v15, v15, v47, -v78
	v_fmac_f16_e32 v79, v52, v47
	v_fma_f16 v23, v40, v23, -v70
	;; [unrolled: 2-line block ×3, first 2 shown]
	v_add_f16_e32 v37, v18, v16
	v_add_f16_e32 v40, v63, v67
	;; [unrolled: 1-line block ×4, first 2 shown]
	v_fma_f16 v17, v17, v43, -v76
	v_add_f16_e32 v36, v34, v18
	v_add_f16_e32 v39, v49, v63
	;; [unrolled: 1-line block ×7, first 2 shown]
	v_sub_f16_e32 v38, v63, v67
	v_sub_f16_e32 v18, v18, v16
	;; [unrolled: 1-line block ×4, first 2 shown]
	v_add_f16_e32 v48, v33, v19
	v_add_f16_e32 v53, v50, v73
	;; [unrolled: 1-line block ×4, first 2 shown]
	v_fmac_f16_e32 v34, -0.5, v37
	v_fmac_f16_e32 v49, -0.5, v40
	v_fmac_f16_e32 v22, -0.5, v42
	v_fmac_f16_e32 v56, -0.5, v47
	v_add_f16_e32 v51, v19, v17
	v_sub_f16_e32 v19, v19, v17
	v_sub_f16_e32 v58, v75, v79
	;; [unrolled: 1-line block ×3, first 2 shown]
	v_add_f16_e32 v16, v36, v16
	v_add_f16_e32 v36, v39, v67
	;; [unrolled: 1-line block ×4, first 2 shown]
	v_fmac_f16_e32 v50, -0.5, v54
	v_fmac_f16_e32 v23, -0.5, v57
	;; [unrolled: 1-line block ×3, first 2 shown]
	v_add_f16_e32 v17, v48, v17
	v_add_f16_e32 v39, v53, v77
	;; [unrolled: 1-line block ×4, first 2 shown]
	v_fmamk_f16 v41, v38, 0x3aee, v34
	v_fmac_f16_e32 v34, 0xbaee, v38
	v_fmamk_f16 v38, v18, 0xbaee, v49
	v_fmac_f16_e32 v49, 0x3aee, v18
	v_fmamk_f16 v18, v43, 0x3aee, v22
	v_fmamk_f16 v42, v20, 0xbaee, v56
	v_fmac_f16_e32 v22, 0xbaee, v43
	v_fmac_f16_e32 v56, 0x3aee, v20
	v_sub_f16_e32 v52, v73, v77
	v_fmac_f16_e32 v33, -0.5, v51
	v_add_f16_e32 v20, v16, v14
	v_add_f16_e32 v43, v36, v37
	v_sub_f16_e32 v14, v16, v14
	v_sub_f16_e32 v16, v36, v37
	v_fmamk_f16 v37, v19, 0xbaee, v50
	v_fmac_f16_e32 v50, 0x3aee, v19
	v_fmamk_f16 v19, v58, 0x3aee, v23
	v_fmamk_f16 v46, v21, 0xbaee, v71
	v_fmac_f16_e32 v23, 0xbaee, v58
	v_fmac_f16_e32 v71, 0x3aee, v21
	v_add_f16_e32 v21, v17, v15
	v_add_f16_e32 v47, v39, v40
	v_sub_f16_e32 v15, v17, v15
	v_sub_f16_e32 v17, v39, v40
	v_mul_f16_e32 v39, 0x3aee, v42
	v_mul_f16_e32 v48, 0xbaee, v18
	v_mul_f16_e32 v40, -0.5, v22
	v_mul_f16_e32 v51, -0.5, v56
	v_fmamk_f16 v36, v52, 0x3aee, v33
	v_fmac_f16_e32 v33, 0xbaee, v52
	v_mul_f16_e32 v52, 0x3aee, v46
	v_mul_f16_e32 v54, 0xbaee, v19
	v_mul_f16_e32 v53, -0.5, v23
	v_mul_f16_e32 v55, -0.5, v71
	v_fmac_f16_e32 v39, 0.5, v18
	v_fmac_f16_e32 v48, 0.5, v42
	v_fmac_f16_e32 v40, 0x3aee, v56
	v_fmac_f16_e32 v51, 0xbaee, v22
	v_fmac_f16_e32 v52, 0.5, v19
	v_fmac_f16_e32 v54, 0.5, v46
	v_fmac_f16_e32 v53, 0x3aee, v71
	v_fmac_f16_e32 v55, 0xbaee, v23
	v_pack_b32_f16 v15, v15, v17
	v_add_f16_e32 v17, v41, v39
	v_add_f16_e32 v19, v38, v48
	v_pack_b32_f16 v14, v14, v16
	v_pack_b32_f16 v16, v21, v47
	v_add_f16_e32 v18, v34, v40
	v_add_f16_e32 v21, v49, v51
	v_sub_f16_e32 v22, v41, v39
	v_sub_f16_e32 v23, v34, v40
	;; [unrolled: 1-line block ×4, first 2 shown]
	v_add_f16_e32 v39, v36, v52
	v_add_f16_e32 v41, v37, v54
	;; [unrolled: 1-line block ×4, first 2 shown]
	v_pack_b32_f16 v20, v20, v43
	v_sub_f16_e32 v36, v36, v52
	v_sub_f16_e32 v33, v33, v53
	;; [unrolled: 1-line block ×4, first 2 shown]
	v_pack_b32_f16 v17, v17, v19
	v_pack_b32_f16 v18, v18, v21
	;; [unrolled: 1-line block ×8, first 2 shown]
	ds_write2_b32 v45, v20, v17 offset1:10
	ds_write2_b32 v45, v18, v14 offset0:20 offset1:30
	ds_write2_b32 v45, v19, v21 offset0:40 offset1:50
	ds_write2_b32 v44, v16, v22 offset1:10
	ds_write2_b32 v44, v23, v15 offset0:20 offset1:30
	ds_write2_b32 v44, v34, v33 offset0:40 offset1:50
	s_and_saveexec_b32 s1, s0
	s_cbranch_execz .LBB0_19
; %bb.18:
	v_add_nc_u32_e32 v14, 0xf0, v3
	v_mov_b32_e32 v15, 0xcccd
	v_lshrrev_b32_e32 v21, 16, v11
	v_mul_u32_u24_sdwa v15, v14, v15 dst_sel:DWORD dst_unused:UNUSED_PAD src0_sel:WORD_0 src1_sel:DWORD
	v_lshrrev_b32_e32 v18, 19, v15
	v_mul_lo_u16 v15, v18, 10
	v_mul_lo_u16 v18, v18, 60
	v_sub_nc_u16 v14, v14, v15
	v_lshlrev_b32_sdwa v18, v35, v18 dst_sel:DWORD dst_unused:UNUSED_PAD src0_sel:DWORD src1_sel:WORD_0
	v_and_b32_e32 v19, 0xffff, v14
	v_mul_u32_u24_e32 v14, 5, v19
	v_lshl_add_u32 v19, v19, 2, 0
	v_lshlrev_b32_e32 v20, 2, v14
	v_add3_u32 v18, v19, v18, v27
	s_clause 0x1
	global_load_dwordx4 v[14:17], v20, s[12:13]
	global_load_dword v20, v20, s[12:13] offset:16
	s_waitcnt vmcnt(1)
	v_mul_f16_sdwa v23, v10, v15 dst_sel:DWORD dst_unused:UNUSED_PAD src0_sel:DWORD src1_sel:WORD_1
	v_mul_f16_sdwa v33, v12, v17 dst_sel:DWORD dst_unused:UNUSED_PAD src0_sel:DWORD src1_sel:WORD_1
	v_mul_f16_sdwa v35, v21, v16 dst_sel:DWORD dst_unused:UNUSED_PAD src0_sel:DWORD src1_sel:WORD_1
	s_waitcnt vmcnt(0)
	v_mul_f16_sdwa v36, v29, v20 dst_sel:DWORD dst_unused:UNUSED_PAD src0_sel:DWORD src1_sel:WORD_1
	v_mul_f16_sdwa v37, v11, v16 dst_sel:DWORD dst_unused:UNUSED_PAD src0_sel:DWORD src1_sel:WORD_1
	;; [unrolled: 1-line block ×7, first 2 shown]
	v_fmac_f16_e32 v23, v31, v15
	v_fmac_f16_e32 v33, v32, v17
	v_fma_f16 v11, v11, v16, -v35
	v_fma_f16 v13, v13, v20, -v36
	v_fmac_f16_e32 v37, v21, v16
	v_fmac_f16_e32 v38, v29, v20
	v_fma_f16 v10, v10, v15, -v19
	v_fma_f16 v12, v12, v17, -v22
	;; [unrolled: 1-line block ×3, first 2 shown]
	v_fmac_f16_e32 v39, v30, v14
	v_add_f16_e32 v15, v23, v33
	v_add_f16_e32 v16, v11, v13
	;; [unrolled: 1-line block ×3, first 2 shown]
	v_sub_f16_e32 v17, v37, v38
	v_sub_f16_e32 v19, v11, v13
	v_add_f16_e32 v21, v4, v23
	v_add_f16_e32 v29, v10, v12
	;; [unrolled: 1-line block ×3, first 2 shown]
	v_fma_f16 v4, -0.5, v15, v4
	v_fma_f16 v9, -0.5, v16, v9
	;; [unrolled: 1-line block ×3, first 2 shown]
	v_sub_f16_e32 v14, v10, v12
	v_add_f16_e32 v22, v39, v37
	v_add_f16_e32 v10, v8, v10
	v_sub_f16_e32 v23, v23, v33
	v_add_f16_e32 v16, v21, v33
	v_fma_f16 v8, -0.5, v29, v8
	v_add_f16_e32 v11, v11, v13
	v_fmamk_f16 v13, v17, 0xbaee, v9
	v_fmamk_f16 v21, v19, 0x3aee, v15
	v_fmac_f16_e32 v15, 0xbaee, v19
	v_fmac_f16_e32 v9, 0x3aee, v17
	v_add_f16_e32 v20, v22, v38
	v_add_f16_e32 v10, v10, v12
	v_fmamk_f16 v17, v23, 0xbaee, v8
	v_fmac_f16_e32 v8, 0x3aee, v23
	v_mul_f16_e32 v22, 0xbaee, v9
	v_mul_f16_e32 v23, 0x3aee, v15
	v_fmamk_f16 v12, v14, 0x3aee, v4
	v_fmac_f16_e32 v4, 0xbaee, v14
	v_sub_f16_e32 v14, v16, v20
	v_sub_f16_e32 v19, v10, v11
	v_add_f16_e32 v16, v16, v20
	v_mul_f16_e32 v20, -0.5, v21
	v_add_f16_e32 v10, v10, v11
	v_mul_f16_e32 v11, -0.5, v13
	v_fmac_f16_e32 v22, 0.5, v15
	v_fmac_f16_e32 v23, 0.5, v9
	v_fmac_f16_e32 v20, 0xbaee, v13
	v_pack_b32_f16 v10, v10, v16
	v_fmac_f16_e32 v11, 0x3aee, v21
	v_sub_f16_e32 v13, v4, v22
	v_add_f16_e32 v4, v4, v22
	v_add_f16_e32 v15, v8, v23
	v_sub_f16_e32 v9, v12, v20
	v_add_f16_e32 v12, v12, v20
	v_add_f16_e32 v16, v17, v11
	v_sub_f16_e32 v8, v8, v23
	v_sub_f16_e32 v11, v17, v11
	v_pack_b32_f16 v4, v15, v4
	v_pack_b32_f16 v14, v19, v14
	;; [unrolled: 1-line block ×5, first 2 shown]
	ds_write2_b32 v18, v10, v4 offset1:10
	ds_write2_b32 v18, v12, v14 offset0:20 offset1:30
	ds_write2_b32 v18, v8, v9 offset0:40 offset1:50
.LBB0_19:
	s_or_b32 exec_lo, exec_lo, s1
	v_subrev_nc_u32_e32 v4, 60, v3
	v_cmp_gt_u32_e64 s0, 60, v3
	v_mov_b32_e32 v9, 0
	s_waitcnt lgkmcnt(0)
	s_barrier
	buffer_gl0_inv
	v_cndmask_b32_e64 v12, v4, v3, s0
	v_add_nc_u32_e32 v15, 0x200, v26
	v_add_nc_u32_e32 v14, 0x600, v26
	;; [unrolled: 1-line block ×4, first 2 shown]
	v_mul_i32_i24_e32 v8, 15, v12
	v_add_nc_u32_e32 v18, 0x1200, v26
	v_mov_b32_e32 v4, v9
	v_add_nc_u32_e32 v17, 0x1600, v26
	v_add_nc_u32_e32 v16, 0x1a00, v26
	v_lshlrev_b64 v[10:11], 2, v[8:9]
	v_mov_b32_e32 v8, v9
	s_add_u32 s1, s12, 0x1dd8
	s_addc_u32 s4, s13, 0
	s_mov_b32 s5, exec_lo
	v_add_co_u32 v10, s0, s12, v10
	v_add_co_ci_u32_e64 v11, s0, s13, v11, s0
	v_cmp_lt_u32_e64 s0, 59, v3
	s_clause 0x3
	global_load_dwordx4 v[20:23], v[10:11], off offset:200
	global_load_dwordx4 v[29:32], v[10:11], off offset:216
	;; [unrolled: 1-line block ×3, first 2 shown]
	global_load_dwordx3 v[37:39], v[10:11], off offset:248
	ds_read_b32 v62, v24
	ds_read_b32 v63, v28
	v_cndmask_b32_e64 v10, 0, 0x3c0, s0
	ds_read2_b32 v[40:41], v15 offset0:112 offset1:232
	ds_read2_b32 v[42:43], v14 offset0:96 offset1:216
	;; [unrolled: 1-line block ×7, first 2 shown]
	s_waitcnt vmcnt(0) lgkmcnt(0)
	v_or_b32_e32 v54, v10, v12
	v_lshlrev_b64 v[9:10], 2, v[3:4]
	v_lshlrev_b64 v[11:12], 2, v[7:8]
	s_barrier
	buffer_gl0_inv
	v_lshlrev_b32_e32 v4, 2, v54
	v_add_co_u32 v8, s0, s12, v9
	v_add_co_ci_u32_e64 v59, s0, s13, v10, s0
	v_add_co_u32 v60, s0, s12, v11
	v_add_co_ci_u32_e64 v61, s0, s13, v12, s0
	v_add_co_u32 v54, s0, 0x1000, v8
	v_lshrrev_b32_e32 v64, 16, v63
	v_lshrrev_b32_e32 v76, 16, v40
	;; [unrolled: 1-line block ×3, first 2 shown]
	v_add_co_ci_u32_e64 v55, s0, 0, v59, s0
	v_add_co_u32 v56, s0, 0x1800, v8
	v_add_co_ci_u32_e64 v57, s0, 0, v59, s0
	v_add3_u32 v4, 0, v4, v27
	v_add_co_u32 v58, s0, 0x800, v8
	v_lshrrev_b32_e32 v8, 16, v42
	v_lshrrev_b32_e32 v27, 16, v43
	;; [unrolled: 1-line block ×13, first 2 shown]
	v_add_nc_u32_e32 v79, 0x400, v4
	v_add_nc_u32_e32 v83, 0xc00, v4
	v_add_co_ci_u32_e64 v59, s0, 0, v59, s0
	v_add_nc_u32_e32 v81, 0x800, v4
	v_add_nc_u32_e32 v82, 0xa00, v4
	v_add_co_u32 v60, s0, 0x800, v60
	v_add_nc_u32_e32 v78, 0x200, v4
	v_add_co_ci_u32_e64 v61, s0, 0, v61, s0
	v_add_nc_u32_e32 v80, 0x600, v4
	v_mul_f16_sdwa v84, v20, v64 dst_sel:DWORD dst_unused:UNUSED_PAD src0_sel:WORD_1 src1_sel:DWORD
	v_mul_f16_sdwa v85, v20, v63 dst_sel:DWORD dst_unused:UNUSED_PAD src0_sel:WORD_1 src1_sel:DWORD
	;; [unrolled: 1-line block ×6, first 2 shown]
	v_mul_f16_sdwa v90, v8, v23 dst_sel:DWORD dst_unused:UNUSED_PAD src0_sel:DWORD src1_sel:WORD_1
	v_mul_f16_sdwa v91, v42, v23 dst_sel:DWORD dst_unused:UNUSED_PAD src0_sel:DWORD src1_sel:WORD_1
	;; [unrolled: 1-line block ×4, first 2 shown]
	v_fma_f16 v40, v21, v40, -v86
	v_fma_f16 v41, v22, v41, -v88
	v_mul_f16_sdwa v86, v66, v30 dst_sel:DWORD dst_unused:UNUSED_PAD src0_sel:DWORD src1_sel:WORD_1
	v_mul_f16_sdwa v88, v44, v30 dst_sel:DWORD dst_unused:UNUSED_PAD src0_sel:DWORD src1_sel:WORD_1
	v_fma_f16 v63, v20, v63, -v84
	v_mul_f16_sdwa v84, v67, v31 dst_sel:DWORD dst_unused:UNUSED_PAD src0_sel:DWORD src1_sel:WORD_1
	v_fmac_f16_e32 v85, v20, v64
	v_mul_f16_sdwa v20, v45, v31 dst_sel:DWORD dst_unused:UNUSED_PAD src0_sel:DWORD src1_sel:WORD_1
	v_fmac_f16_e32 v87, v21, v76
	;; [unrolled: 2-line block ×4, first 2 shown]
	v_mul_f16_sdwa v8, v69, v33 dst_sel:DWORD dst_unused:UNUSED_PAD src0_sel:DWORD src1_sel:WORD_1
	v_fma_f16 v23, v42, v23, -v90
	v_mul_f16_sdwa v42, v47, v33 dst_sel:DWORD dst_unused:UNUSED_PAD src0_sel:DWORD src1_sel:WORD_1
	v_mul_f16_sdwa v64, v70, v34 dst_sel:DWORD dst_unused:UNUSED_PAD src0_sel:DWORD src1_sel:WORD_1
	;; [unrolled: 1-line block ×4, first 2 shown]
	v_fma_f16 v43, v43, v29, -v92
	v_mul_f16_sdwa v90, v49, v35 dst_sel:DWORD dst_unused:UNUSED_PAD src0_sel:DWORD src1_sel:WORD_1
	v_mul_f16_sdwa v92, v72, v36 dst_sel:DWORD dst_unused:UNUSED_PAD src0_sel:DWORD src1_sel:WORD_1
	v_fma_f16 v44, v44, v30, -v86
	v_fma_f16 v45, v45, v31, -v84
	v_mul_f16_sdwa v84, v50, v36 dst_sel:DWORD dst_unused:UNUSED_PAD src0_sel:DWORD src1_sel:WORD_1
	v_mul_f16_sdwa v86, v73, v37 dst_sel:DWORD dst_unused:UNUSED_PAD src0_sel:DWORD src1_sel:WORD_1
	v_fmac_f16_e32 v93, v27, v29
	v_mul_f16_sdwa v27, v51, v37 dst_sel:DWORD dst_unused:UNUSED_PAD src0_sel:DWORD src1_sel:WORD_1
	v_fmac_f16_e32 v88, v66, v30
	;; [unrolled: 2-line block ×4, first 2 shown]
	v_mul_f16_sdwa v31, v75, v39 dst_sel:DWORD dst_unused:UNUSED_PAD src0_sel:DWORD src1_sel:WORD_1
	v_fma_f16 v21, v46, v32, -v21
	v_mul_f16_sdwa v32, v53, v39 dst_sel:DWORD dst_unused:UNUSED_PAD src0_sel:DWORD src1_sel:WORD_1
	v_fma_f16 v8, v47, v33, -v8
	v_fmac_f16_e32 v42, v69, v33
	v_fma_f16 v33, v48, v34, -v64
	v_fmac_f16_e32 v76, v70, v34
	;; [unrolled: 2-line block ×7, first 2 shown]
	v_sub_f16_e32 v21, v62, v21
	v_sub_f16_e32 v22, v65, v22
	;; [unrolled: 1-line block ×16, first 2 shown]
	v_fma_f16 v46, v62, 2.0, -v21
	v_fma_f16 v47, v65, 2.0, -v22
	;; [unrolled: 1-line block ×16, first 2 shown]
	v_sub_f16_e32 v37, v21, v37
	v_add_f16_e32 v35, v22, v35
	v_sub_f16_e32 v30, v33, v30
	v_add_f16_e32 v29, v38, v29
	;; [unrolled: 2-line block ×4, first 2 shown]
	v_sub_f16_e32 v23, v46, v23
	v_sub_f16_e32 v48, v47, v48
	v_fma_f16 v21, v21, 2.0, -v37
	v_fma_f16 v22, v22, 2.0, -v35
	v_sub_f16_e32 v44, v40, v44
	v_sub_f16_e32 v50, v49, v50
	v_fma_f16 v33, v33, 2.0, -v30
	v_fma_f16 v38, v38, 2.0, -v29
	;; [unrolled: 4-line block ×4, first 2 shown]
	v_fmamk_f16 v63, v30, 0x39a8, v37
	v_fmamk_f16 v64, v29, 0x39a8, v35
	;; [unrolled: 1-line block ×4, first 2 shown]
	v_fma_f16 v46, v46, 2.0, -v23
	v_fma_f16 v47, v47, 2.0, -v48
	;; [unrolled: 1-line block ×8, first 2 shown]
	v_fmamk_f16 v67, v33, 0xb9a8, v21
	v_fmamk_f16 v68, v38, 0xb9a8, v22
	v_fmac_f16_e32 v63, 0xb9a8, v29
	v_fmac_f16_e32 v64, 0x39a8, v30
	v_fmamk_f16 v29, v34, 0xb9a8, v8
	v_fmamk_f16 v30, v42, 0xb9a8, v39
	v_sub_f16_e32 v50, v23, v50
	v_add_f16_e32 v44, v48, v44
	v_sub_f16_e32 v20, v43, v20
	v_add_f16_e32 v45, v53, v45
	v_fmac_f16_e32 v65, 0xb9a8, v31
	v_fmac_f16_e32 v66, 0x39a8, v32
	v_sub_f16_e32 v31, v46, v40
	v_sub_f16_e32 v32, v47, v49
	v_fmac_f16_e32 v67, 0xb9a8, v38
	v_fmac_f16_e32 v68, 0x39a8, v33
	v_sub_f16_e32 v38, v51, v41
	v_sub_f16_e32 v40, v52, v62
	v_fmac_f16_e32 v29, 0xb9a8, v42
	v_fmac_f16_e32 v30, 0x39a8, v34
	v_fma_f16 v23, v23, 2.0, -v50
	v_fma_f16 v33, v48, 2.0, -v44
	;; [unrolled: 1-line block ×8, first 2 shown]
	v_fmamk_f16 v42, v20, 0x39a8, v50
	v_fmamk_f16 v43, v45, 0x39a8, v44
	;; [unrolled: 1-line block ×4, first 2 shown]
	v_fma_f16 v46, v46, 2.0, -v31
	v_fma_f16 v47, v47, 2.0, -v32
	;; [unrolled: 1-line block ×8, first 2 shown]
	v_fmamk_f16 v53, v34, 0xb9a8, v23
	v_fmamk_f16 v62, v41, 0xb9a8, v33
	;; [unrolled: 1-line block ×6, first 2 shown]
	v_sub_f16_e32 v40, v31, v40
	v_add_f16_e32 v38, v32, v38
	v_fmac_f16_e32 v42, 0xb9a8, v45
	v_fmac_f16_e32 v43, 0x39a8, v20
	;; [unrolled: 1-line block ×4, first 2 shown]
	v_sub_f16_e32 v20, v46, v51
	v_sub_f16_e32 v45, v47, v52
	v_fmamk_f16 v51, v8, 0xbb64, v21
	v_fmamk_f16 v52, v39, 0xbb64, v22
	v_fmac_f16_e32 v53, 0xb9a8, v41
	v_fmac_f16_e32 v62, 0x39a8, v34
	;; [unrolled: 1-line block ×6, first 2 shown]
	v_fma_f16 v27, v31, 2.0, -v40
	v_fma_f16 v31, v32, 2.0, -v38
	;; [unrolled: 1-line block ×6, first 2 shown]
	v_fmac_f16_e32 v51, 0xb61f, v39
	v_fmac_f16_e32 v52, 0x361f, v8
	v_fma_f16 v8, v23, 2.0, -v53
	v_fma_f16 v23, v33, 2.0, -v62
	;; [unrolled: 1-line block ×6, first 2 shown]
	v_pack_b32_f16 v29, v29, v30
	v_pack_b32_f16 v30, v32, v34
	;; [unrolled: 1-line block ×5, first 2 shown]
	v_fma_f16 v41, v46, 2.0, -v20
	v_fma_f16 v42, v47, 2.0, -v45
	;; [unrolled: 1-line block ×4, first 2 shown]
	v_pack_b32_f16 v27, v27, v31
	v_pack_b32_f16 v31, v53, v62
	;; [unrolled: 1-line block ×8, first 2 shown]
	ds_write2_b32 v79, v29, v30 offset0:104 offset1:164
	v_pack_b32_f16 v29, v51, v52
	ds_write2_b32 v83, v38, v40 offset0:72 offset1:132
	v_pack_b32_f16 v38, v41, v42
	v_pack_b32_f16 v21, v21, v22
	ds_write2_b32 v81, v31, v32 offset0:88 offset1:148
	ds_write2_b32 v82, v36, v34 offset0:80 offset1:140
	;; [unrolled: 1-line block ×5, first 2 shown]
	ds_write2_b32 v4, v38, v21 offset1:60
	s_waitcnt lgkmcnt(0)
	s_barrier
	buffer_gl0_inv
	s_clause 0x7
	global_load_dword v4, v[56:57], off offset:536
	global_load_dword v8, v[56:57], off offset:1016
	;; [unrolled: 1-line block ×8, first 2 shown]
	ds_read2_b32 v[19:20], v19 offset0:64 offset1:184
	ds_read2_b32 v[21:22], v18 offset0:48 offset1:168
	ds_read2_b32 v[29:30], v17 offset0:32 offset1:152
	ds_read2_b32 v[31:32], v16 offset0:16 offset1:136
	ds_read_b32 v43, v24
	ds_read_b32 v44, v28
	ds_read2_b32 v[33:34], v15 offset0:112 offset1:232
	ds_read2_b32 v[35:36], v14 offset0:96 offset1:216
	;; [unrolled: 1-line block ×3, first 2 shown]
	s_waitcnt vmcnt(0) lgkmcnt(0)
	s_barrier
	buffer_gl0_inv
	v_pk_mul_f16 v50, v31, v4 op_sel:[0,1]
	v_pk_mul_f16 v51, v32, v8 op_sel:[0,1]
	;; [unrolled: 1-line block ×8, first 2 shown]
	v_pk_fma_f16 v53, v23, v19, v45 op_sel:[0,0,1] op_sel_hi:[1,1,0] neg_lo:[0,0,1] neg_hi:[0,0,1]
	v_pk_fma_f16 v19, v23, v19, v45 op_sel:[0,0,1] op_sel_hi:[1,0,0]
	v_pk_fma_f16 v23, v39, v21, v46 op_sel:[0,0,1] op_sel_hi:[1,1,0] neg_lo:[0,0,1] neg_hi:[0,0,1]
	v_pk_fma_f16 v21, v39, v21, v46 op_sel:[0,0,1] op_sel_hi:[1,0,0]
	;; [unrolled: 2-line block ×8, first 2 shown]
	v_bfi_b32 v19, 0xffff, v53, v19
	v_bfi_b32 v22, 0xffff, v39, v22
	;; [unrolled: 1-line block ×8, first 2 shown]
	v_pk_add_f16 v19, v43, v19 neg_lo:[0,1] neg_hi:[0,1]
	v_pk_add_f16 v22, v34, v22 neg_lo:[0,1] neg_hi:[0,1]
	;; [unrolled: 1-line block ×8, first 2 shown]
	v_pk_fma_f16 v29, v43, 2.0, v19 op_sel_hi:[1,0,1] neg_lo:[0,0,1] neg_hi:[0,0,1]
	v_pk_fma_f16 v31, v34, 2.0, v22 op_sel_hi:[1,0,1] neg_lo:[0,0,1] neg_hi:[0,0,1]
	v_pk_fma_f16 v34, v44, 2.0, v20 op_sel_hi:[1,0,1] neg_lo:[0,0,1] neg_hi:[0,0,1]
	v_pk_fma_f16 v30, v33, 2.0, v21 op_sel_hi:[1,0,1] neg_lo:[0,0,1] neg_hi:[0,0,1]
	v_pk_fma_f16 v32, v35, 2.0, v23 op_sel_hi:[1,0,1] neg_lo:[0,0,1] neg_hi:[0,0,1]
	v_pk_fma_f16 v33, v36, 2.0, v27 op_sel_hi:[1,0,1] neg_lo:[0,0,1] neg_hi:[0,0,1]
	v_pk_fma_f16 v35, v37, 2.0, v4 op_sel_hi:[1,0,1] neg_lo:[0,0,1] neg_hi:[0,0,1]
	v_pk_fma_f16 v36, v38, 2.0, v8 op_sel_hi:[1,0,1] neg_lo:[0,0,1] neg_hi:[0,0,1]
	ds_write_b32 v26, v19 offset:3840
	ds_write_b32 v26, v29
	ds_write2st64_b32 v28, v34, v20 offset1:15
	ds_write2_b32 v15, v30, v31 offset0:112 offset1:232
	ds_write2_b32 v18, v21, v22 offset0:48 offset1:168
	;; [unrolled: 1-line block ×6, first 2 shown]
	s_waitcnt lgkmcnt(0)
	s_barrier
	buffer_gl0_inv
	ds_read_b32 v15, v24
	v_sub_nc_u32_e32 v4, v0, v25
                                        ; implicit-def: $vgpr13
                                        ; implicit-def: $vgpr8
                                        ; implicit-def: $vgpr14
	v_cmpx_ne_u32_e32 0, v3
	s_xor_b32 s5, exec_lo, s5
	s_cbranch_execz .LBB0_21
; %bb.20:
	v_add_co_u32 v13, s0, s1, v9
	v_add_co_ci_u32_e64 v14, s0, s4, v10, s0
	global_load_dword v8, v[13:14], off
	ds_read_b32 v13, v4 offset:7680
	s_waitcnt lgkmcnt(0)
	v_pk_add_f16 v14, v15, v13 neg_lo:[0,1] neg_hi:[0,1]
	v_pk_add_f16 v13, v13, v15
	v_bfi_b32 v15, 0xffff, v14, v13
	v_bfi_b32 v13, 0xffff, v13, v14
	v_pk_mul_f16 v15, v15, 0.5 op_sel_hi:[1,0]
	v_pk_mul_f16 v16, v13, 0.5 op_sel_hi:[1,0]
	s_waitcnt vmcnt(0)
	v_pk_mul_f16 v14, v8, v15 op_sel:[1,0]
	v_pk_mul_f16 v15, v8, v15 op_sel_hi:[0,1]
	v_pk_fma_f16 v8, v13, 0.5, v14 op_sel_hi:[1,0,1]
	v_sub_f16_e32 v13, v16, v14
	v_sub_f16_sdwa v14, v14, v16 dst_sel:DWORD dst_unused:UNUSED_PAD src0_sel:WORD_1 src1_sel:WORD_1
	v_pk_add_f16 v17, v8, v15 op_sel:[0,1] op_sel_hi:[1,0]
	v_pk_add_f16 v18, v8, v15 op_sel:[0,1] op_sel_hi:[1,0] neg_lo:[0,1] neg_hi:[0,1]
	v_sub_f16_sdwa v8, v13, v15 dst_sel:DWORD dst_unused:UNUSED_PAD src0_sel:DWORD src1_sel:WORD_1
	v_sub_f16_e32 v14, v14, v15
                                        ; implicit-def: $vgpr15
	v_bfi_b32 v13, 0xffff, v17, v18
.LBB0_21:
	s_andn2_saveexec_b32 s0, s5
	s_cbranch_execz .LBB0_23
; %bb.22:
	ds_read_u16 v13, v0 offset:3842
	s_waitcnt lgkmcnt(1)
	v_alignbit_b32 v8, s0, v15, 16
	v_pk_add_f16 v14, v8, v15
	v_sub_f16_sdwa v8, v15, v15 dst_sel:DWORD dst_unused:UNUSED_PAD src0_sel:DWORD src1_sel:WORD_1
	s_waitcnt lgkmcnt(0)
	v_xor_b32_e32 v15, 0x8000, v13
	v_pack_b32_f16 v13, v14, 0
	v_mov_b32_e32 v14, 0
	ds_write_b16 v0, v15 offset:3842
.LBB0_23:
	s_or_b32 exec_lo, exec_lo, s0
	v_add_co_u32 v11, s0, s1, v11
	v_add_co_ci_u32_e64 v12, s0, s4, v12, s0
	v_add_co_u32 v9, s0, s1, v9
	v_add_co_ci_u32_e64 v10, s0, s4, v10, s0
	global_load_dword v11, v[11:12], off
	v_lshl_add_u32 v7, v7, 2, v0
	global_load_dword v12, v[9:10], off offset:960
	s_waitcnt lgkmcnt(0)
	s_clause 0x1
	global_load_dword v15, v[9:10], off offset:1440
	global_load_dword v16, v[9:10], off offset:1920
	v_add_co_u32 v9, s0, 0x800, v9
	v_add_co_ci_u32_e64 v10, s0, 0, v10, s0
	global_load_dword v17, v[9:10], off offset:352
	ds_write_b16 v4, v14 offset:7682
	ds_write_b32 v24, v13
	ds_write_b16 v4, v8 offset:7680
	ds_read_b32 v8, v7
	ds_read_b32 v13, v4 offset:7200
	s_clause 0x1
	global_load_dword v14, v[9:10], off offset:832
	global_load_dword v9, v[9:10], off offset:1312
	s_waitcnt lgkmcnt(0)
	v_pk_add_f16 v18, v8, v13 neg_lo:[0,1] neg_hi:[0,1]
	v_pk_add_f16 v8, v8, v13
	v_bfi_b32 v13, 0xffff, v18, v8
	v_bfi_b32 v8, 0xffff, v8, v18
	v_pk_mul_f16 v13, v13, 0.5 op_sel_hi:[1,0]
	v_pk_mul_f16 v8, v8, 0.5 op_sel_hi:[1,0]
	s_waitcnt vmcnt(6)
	v_pk_fma_f16 v10, v11, v13, v8 op_sel:[1,0,0]
	v_pk_mul_f16 v18, v11, v13 op_sel_hi:[0,1]
	v_pk_fma_f16 v19, v11, v13, v8 op_sel:[1,0,0] neg_lo:[1,0,0] neg_hi:[1,0,0]
	v_pk_fma_f16 v8, v11, v13, v8 op_sel:[1,0,0] neg_lo:[0,0,1] neg_hi:[0,0,1]
	v_pk_add_f16 v11, v10, v18 op_sel:[0,1] op_sel_hi:[1,0]
	v_pk_add_f16 v10, v10, v18 op_sel:[0,1] op_sel_hi:[1,0] neg_lo:[0,1] neg_hi:[0,1]
	v_pk_add_f16 v13, v19, v18 op_sel:[0,1] op_sel_hi:[1,0] neg_lo:[0,1] neg_hi:[0,1]
	;; [unrolled: 1-line block ×3, first 2 shown]
	v_bfi_b32 v10, 0xffff, v11, v10
	v_bfi_b32 v8, 0xffff, v13, v8
	ds_write_b32 v7, v10
	ds_write_b32 v4, v8 offset:7200
	ds_read_b32 v7, v24 offset:960
	ds_read_b32 v8, v4 offset:6720
	s_waitcnt lgkmcnt(0)
	v_pk_add_f16 v10, v7, v8 neg_lo:[0,1] neg_hi:[0,1]
	v_pk_add_f16 v7, v7, v8
	v_bfi_b32 v8, 0xffff, v10, v7
	v_bfi_b32 v7, 0xffff, v7, v10
	v_pk_mul_f16 v8, v8, 0.5 op_sel_hi:[1,0]
	v_pk_mul_f16 v11, v7, 0.5 op_sel_hi:[1,0]
	s_waitcnt vmcnt(5)
	v_pk_mul_f16 v10, v12, v8 op_sel:[1,0]
	v_pk_mul_f16 v8, v12, v8 op_sel_hi:[0,1]
	v_pk_fma_f16 v7, v7, 0.5, v10 op_sel_hi:[1,0,1]
	v_sub_f16_sdwa v12, v10, v11 dst_sel:DWORD dst_unused:UNUSED_PAD src0_sel:WORD_1 src1_sel:WORD_1
	v_sub_f16_e32 v10, v11, v10
	v_pk_add_f16 v13, v7, v8 op_sel:[0,1] op_sel_hi:[1,0]
	v_pk_add_f16 v7, v7, v8 op_sel:[0,1] op_sel_hi:[1,0] neg_lo:[0,1] neg_hi:[0,1]
	v_sub_f16_e32 v11, v12, v8
	v_sub_f16_sdwa v8, v10, v8 dst_sel:DWORD dst_unused:UNUSED_PAD src0_sel:DWORD src1_sel:WORD_1
	v_bfi_b32 v7, 0xffff, v13, v7
	ds_write_b16 v4, v11 offset:6722
	ds_write_b32 v24, v7 offset:960
	ds_write_b16 v4, v8 offset:6720
	ds_read_b32 v7, v24 offset:1440
	ds_read_b32 v8, v4 offset:6240
	s_waitcnt lgkmcnt(0)
	v_pk_add_f16 v10, v7, v8 neg_lo:[0,1] neg_hi:[0,1]
	v_pk_add_f16 v7, v7, v8
	v_bfi_b32 v8, 0xffff, v10, v7
	v_bfi_b32 v7, 0xffff, v7, v10
	v_pk_mul_f16 v8, v8, 0.5 op_sel_hi:[1,0]
	v_pk_mul_f16 v11, v7, 0.5 op_sel_hi:[1,0]
	s_waitcnt vmcnt(4)
	v_pk_mul_f16 v10, v15, v8 op_sel:[1,0]
	v_pk_mul_f16 v8, v15, v8 op_sel_hi:[0,1]
	v_pk_fma_f16 v7, v7, 0.5, v10 op_sel_hi:[1,0,1]
	v_sub_f16_sdwa v12, v10, v11 dst_sel:DWORD dst_unused:UNUSED_PAD src0_sel:WORD_1 src1_sel:WORD_1
	v_sub_f16_e32 v10, v11, v10
	v_pk_add_f16 v13, v7, v8 op_sel:[0,1] op_sel_hi:[1,0]
	v_pk_add_f16 v7, v7, v8 op_sel:[0,1] op_sel_hi:[1,0] neg_lo:[0,1] neg_hi:[0,1]
	v_sub_f16_e32 v11, v12, v8
	v_sub_f16_sdwa v8, v10, v8 dst_sel:DWORD dst_unused:UNUSED_PAD src0_sel:DWORD src1_sel:WORD_1
	v_bfi_b32 v7, 0xffff, v13, v7
	ds_write_b16 v4, v11 offset:6242
	ds_write_b32 v24, v7 offset:1440
	ds_write_b16 v4, v8 offset:6240
	;; [unrolled: 23-line block ×5, first 2 shown]
	ds_read_b32 v7, v24 offset:3360
	ds_read_b32 v8, v4 offset:4320
	s_waitcnt lgkmcnt(0)
	v_pk_add_f16 v10, v7, v8 neg_lo:[0,1] neg_hi:[0,1]
	v_pk_add_f16 v7, v7, v8
	v_bfi_b32 v8, 0xffff, v10, v7
	v_bfi_b32 v7, 0xffff, v7, v10
	v_pk_mul_f16 v8, v8, 0.5 op_sel_hi:[1,0]
	v_pk_mul_f16 v7, v7, 0.5 op_sel_hi:[1,0]
	s_waitcnt vmcnt(0)
	v_pk_mul_f16 v11, v9, v8 op_sel_hi:[0,1]
	v_pk_fma_f16 v10, v9, v8, v7 op_sel:[1,0,0]
	v_pk_fma_f16 v12, v9, v8, v7 op_sel:[1,0,0] neg_lo:[1,0,0] neg_hi:[1,0,0]
	v_pk_fma_f16 v7, v9, v8, v7 op_sel:[1,0,0] neg_lo:[0,0,1] neg_hi:[0,0,1]
	v_pk_add_f16 v8, v10, v11 op_sel:[0,1] op_sel_hi:[1,0]
	v_pk_add_f16 v9, v10, v11 op_sel:[0,1] op_sel_hi:[1,0] neg_lo:[0,1] neg_hi:[0,1]
	v_pk_add_f16 v10, v12, v11 op_sel:[0,1] op_sel_hi:[1,0] neg_lo:[0,1] neg_hi:[0,1]
	;; [unrolled: 1-line block ×3, first 2 shown]
	v_bfi_b32 v8, 0xffff, v8, v9
	v_bfi_b32 v7, 0xffff, v10, v7
	ds_write_b32 v24, v8 offset:3360
	ds_write_b32 v4, v7 offset:4320
	s_waitcnt lgkmcnt(0)
	s_barrier
	buffer_gl0_inv
	s_and_saveexec_b32 s0, vcc_lo
	s_cbranch_execz .LBB0_26
; %bb.24:
	v_mul_lo_u32 v7, s3, v5
	v_mul_lo_u32 v8, s2, v6
	v_mad_u64_u32 v[5:6], null, s2, v5, 0
	v_mov_b32_e32 v4, 0
	v_lshl_add_u32 v0, v3, 2, v0
	v_lshlrev_b64 v[1:2], 2, v[1:2]
	v_add_nc_u32_e32 v9, 0xf0, v3
	v_lshlrev_b64 v[13:14], 2, v[3:4]
	v_add3_u32 v6, v6, v8, v7
	v_add_nc_u32_e32 v7, 0x78, v3
	v_mov_b32_e32 v8, v4
	v_add_nc_u32_e32 v15, 0x200, v0
	ds_read2_b32 v[11:12], v0 offset1:120
	v_lshlrev_b64 v[5:6], 2, v[5:6]
	v_mov_b32_e32 v10, v4
	v_add_nc_u32_e32 v19, 0xe00, v0
	v_mov_b32_e32 v18, v4
	v_add_co_u32 v16, vcc_lo, s10, v5
	v_add_co_ci_u32_e32 v17, vcc_lo, s11, v6, vcc_lo
	v_lshlrev_b64 v[5:6], 2, v[7:8]
	ds_read2_b32 v[7:8], v15 offset0:112 offset1:232
	v_add_co_u32 v1, vcc_lo, v16, v1
	v_add_co_ci_u32_e32 v2, vcc_lo, v17, v2, vcc_lo
	v_lshlrev_b64 v[9:10], 2, v[9:10]
	v_add_co_u32 v13, vcc_lo, v1, v13
	v_add_nc_u32_e32 v15, 0x168, v3
	v_mov_b32_e32 v16, v4
	v_add_co_ci_u32_e32 v14, vcc_lo, v2, v14, vcc_lo
	v_add_co_u32 v5, vcc_lo, v1, v5
	v_add_co_ci_u32_e32 v6, vcc_lo, v2, v6, vcc_lo
	v_lshlrev_b64 v[15:16], 2, v[15:16]
	v_add_co_u32 v9, vcc_lo, v1, v9
	v_add_co_ci_u32_e32 v10, vcc_lo, v2, v10, vcc_lo
	s_waitcnt lgkmcnt(1)
	global_store_dword v[13:14], v11, off
	global_store_dword v[5:6], v12, off
	s_waitcnt lgkmcnt(0)
	global_store_dword v[9:10], v7, off
	v_add_co_u32 v5, vcc_lo, v1, v15
	v_add_co_ci_u32_e32 v6, vcc_lo, v2, v16, vcc_lo
	v_add_nc_u32_e32 v7, 0x600, v0
	v_add_nc_u32_e32 v13, 0xa00, v0
	;; [unrolled: 1-line block ×3, first 2 shown]
	v_mov_b32_e32 v10, v4
	v_add_nc_u32_e32 v11, 0x258, v3
	v_mov_b32_e32 v12, v4
	global_store_dword v[5:6], v8, off
	ds_read2_b32 v[5:6], v7 offset0:96 offset1:216
	ds_read2_b32 v[13:14], v13 offset0:80 offset1:200
	v_lshlrev_b64 v[7:8], 2, v[9:10]
	v_lshlrev_b64 v[9:10], 2, v[11:12]
	v_add_nc_u32_e32 v11, 0x2d0, v3
	v_add_nc_u32_e32 v15, 0x348, v3
	v_mov_b32_e32 v16, v4
	ds_read2_b32 v[19:20], v19 offset0:64 offset1:184
	v_add_co_u32 v7, vcc_lo, v1, v7
	v_lshlrev_b64 v[11:12], 2, v[11:12]
	v_add_co_ci_u32_e32 v8, vcc_lo, v2, v8, vcc_lo
	v_add_co_u32 v9, vcc_lo, v1, v9
	v_add_co_ci_u32_e32 v10, vcc_lo, v2, v10, vcc_lo
	v_add_co_u32 v11, vcc_lo, v1, v11
	v_add_nc_u32_e32 v17, 0x3c0, v3
	v_add_co_ci_u32_e32 v12, vcc_lo, v2, v12, vcc_lo
	v_lshlrev_b64 v[15:16], 2, v[15:16]
	s_waitcnt lgkmcnt(2)
	global_store_dword v[7:8], v5, off
	global_store_dword v[9:10], v6, off
	s_waitcnt lgkmcnt(1)
	global_store_dword v[11:12], v13, off
	v_lshlrev_b64 v[5:6], 2, v[17:18]
	v_add_nc_u32_e32 v13, 0x1200, v0
	v_add_nc_u32_e32 v9, 0x438, v3
	v_mov_b32_e32 v10, v4
	v_add_co_u32 v7, vcc_lo, v1, v15
	v_add_co_ci_u32_e32 v8, vcc_lo, v2, v16, vcc_lo
	v_add_co_u32 v5, vcc_lo, v1, v5
	v_add_co_ci_u32_e32 v6, vcc_lo, v2, v6, vcc_lo
	v_add_nc_u32_e32 v11, 0x4b0, v3
	v_mov_b32_e32 v12, v4
	global_store_dword v[7:8], v14, off
	s_waitcnt lgkmcnt(0)
	global_store_dword v[5:6], v19, off
	ds_read2_b32 v[7:8], v13 offset0:48 offset1:168
	v_lshlrev_b64 v[5:6], 2, v[9:10]
	v_add_nc_u32_e32 v13, 0x5a0, v3
	v_lshlrev_b64 v[9:10], 2, v[11:12]
	v_add_nc_u32_e32 v11, 0x528, v3
	v_mov_b32_e32 v14, v4
	v_add_nc_u32_e32 v15, 0x1600, v0
	v_add_co_u32 v5, vcc_lo, v1, v5
	v_lshlrev_b64 v[11:12], 2, v[11:12]
	v_add_co_ci_u32_e32 v6, vcc_lo, v2, v6, vcc_lo
	v_add_co_u32 v9, vcc_lo, v1, v9
	v_add_co_ci_u32_e32 v10, vcc_lo, v2, v10, vcc_lo
	v_add_co_u32 v11, vcc_lo, v1, v11
	v_add_co_ci_u32_e32 v12, vcc_lo, v2, v12, vcc_lo
	global_store_dword v[5:6], v20, off
	s_waitcnt lgkmcnt(0)
	global_store_dword v[9:10], v7, off
	global_store_dword v[11:12], v8, off
	v_add_nc_u32_e32 v9, 0x618, v3
	v_mov_b32_e32 v10, v4
	v_lshlrev_b64 v[7:8], 2, v[13:14]
	v_add_nc_u32_e32 v13, 0x1a00, v0
	v_add_nc_u32_e32 v11, 0x690, v3
	v_mov_b32_e32 v12, v4
	ds_read2_b32 v[5:6], v15 offset0:32 offset1:152
	v_lshlrev_b64 v[9:10], 2, v[9:10]
	v_add_nc_u32_e32 v15, 0x708, v3
	v_mov_b32_e32 v16, v4
	ds_read2_b32 v[13:14], v13 offset0:16 offset1:136
	v_add_co_u32 v7, vcc_lo, v1, v7
	v_lshlrev_b64 v[11:12], 2, v[11:12]
	v_add_co_ci_u32_e32 v8, vcc_lo, v2, v8, vcc_lo
	v_add_co_u32 v9, vcc_lo, v1, v9
	v_lshlrev_b64 v[15:16], 2, v[15:16]
	v_add_co_ci_u32_e32 v10, vcc_lo, v2, v10, vcc_lo
	v_add_co_u32 v11, vcc_lo, v1, v11
	v_add_co_ci_u32_e32 v12, vcc_lo, v2, v12, vcc_lo
	v_add_co_u32 v15, vcc_lo, v1, v15
	v_add_co_ci_u32_e32 v16, vcc_lo, v2, v16, vcc_lo
	v_cmp_eq_u32_e32 vcc_lo, 0x77, v3
	s_waitcnt lgkmcnt(1)
	global_store_dword v[7:8], v5, off
	global_store_dword v[9:10], v6, off
	s_waitcnt lgkmcnt(0)
	global_store_dword v[11:12], v13, off
	global_store_dword v[15:16], v14, off
	s_and_b32 exec_lo, exec_lo, vcc_lo
	s_cbranch_execz .LBB0_26
; %bb.25:
	ds_read_b32 v3, v0 offset:7204
	v_add_co_u32 v0, vcc_lo, 0x1800, v1
	v_add_co_ci_u32_e32 v1, vcc_lo, 0, v2, vcc_lo
	s_waitcnt lgkmcnt(0)
	global_store_dword v[0:1], v3, off offset:1536
.LBB0_26:
	s_endpgm
	.section	.rodata,"a",@progbits
	.p2align	6, 0x0
	.amdhsa_kernel fft_rtc_fwd_len1920_factors_10_6_16_2_wgs_240_tpt_120_halfLds_half_op_CI_CI_unitstride_sbrr_R2C_dirReg
		.amdhsa_group_segment_fixed_size 0
		.amdhsa_private_segment_fixed_size 0
		.amdhsa_kernarg_size 104
		.amdhsa_user_sgpr_count 6
		.amdhsa_user_sgpr_private_segment_buffer 1
		.amdhsa_user_sgpr_dispatch_ptr 0
		.amdhsa_user_sgpr_queue_ptr 0
		.amdhsa_user_sgpr_kernarg_segment_ptr 1
		.amdhsa_user_sgpr_dispatch_id 0
		.amdhsa_user_sgpr_flat_scratch_init 0
		.amdhsa_user_sgpr_private_segment_size 0
		.amdhsa_wavefront_size32 1
		.amdhsa_uses_dynamic_stack 0
		.amdhsa_system_sgpr_private_segment_wavefront_offset 0
		.amdhsa_system_sgpr_workgroup_id_x 1
		.amdhsa_system_sgpr_workgroup_id_y 0
		.amdhsa_system_sgpr_workgroup_id_z 0
		.amdhsa_system_sgpr_workgroup_info 0
		.amdhsa_system_vgpr_workitem_id 0
		.amdhsa_next_free_vgpr 94
		.amdhsa_next_free_sgpr 27
		.amdhsa_reserve_vcc 1
		.amdhsa_reserve_flat_scratch 0
		.amdhsa_float_round_mode_32 0
		.amdhsa_float_round_mode_16_64 0
		.amdhsa_float_denorm_mode_32 3
		.amdhsa_float_denorm_mode_16_64 3
		.amdhsa_dx10_clamp 1
		.amdhsa_ieee_mode 1
		.amdhsa_fp16_overflow 0
		.amdhsa_workgroup_processor_mode 1
		.amdhsa_memory_ordered 1
		.amdhsa_forward_progress 0
		.amdhsa_shared_vgpr_count 0
		.amdhsa_exception_fp_ieee_invalid_op 0
		.amdhsa_exception_fp_denorm_src 0
		.amdhsa_exception_fp_ieee_div_zero 0
		.amdhsa_exception_fp_ieee_overflow 0
		.amdhsa_exception_fp_ieee_underflow 0
		.amdhsa_exception_fp_ieee_inexact 0
		.amdhsa_exception_int_div_zero 0
	.end_amdhsa_kernel
	.text
.Lfunc_end0:
	.size	fft_rtc_fwd_len1920_factors_10_6_16_2_wgs_240_tpt_120_halfLds_half_op_CI_CI_unitstride_sbrr_R2C_dirReg, .Lfunc_end0-fft_rtc_fwd_len1920_factors_10_6_16_2_wgs_240_tpt_120_halfLds_half_op_CI_CI_unitstride_sbrr_R2C_dirReg
                                        ; -- End function
	.section	.AMDGPU.csdata,"",@progbits
; Kernel info:
; codeLenInByte = 11656
; NumSgprs: 29
; NumVgprs: 94
; ScratchSize: 0
; MemoryBound: 0
; FloatMode: 240
; IeeeMode: 1
; LDSByteSize: 0 bytes/workgroup (compile time only)
; SGPRBlocks: 3
; VGPRBlocks: 11
; NumSGPRsForWavesPerEU: 29
; NumVGPRsForWavesPerEU: 94
; Occupancy: 10
; WaveLimiterHint : 1
; COMPUTE_PGM_RSRC2:SCRATCH_EN: 0
; COMPUTE_PGM_RSRC2:USER_SGPR: 6
; COMPUTE_PGM_RSRC2:TRAP_HANDLER: 0
; COMPUTE_PGM_RSRC2:TGID_X_EN: 1
; COMPUTE_PGM_RSRC2:TGID_Y_EN: 0
; COMPUTE_PGM_RSRC2:TGID_Z_EN: 0
; COMPUTE_PGM_RSRC2:TIDIG_COMP_CNT: 0
	.text
	.p2alignl 6, 3214868480
	.fill 48, 4, 3214868480
	.type	__hip_cuid_a38a9ffcbe0c2cfc,@object ; @__hip_cuid_a38a9ffcbe0c2cfc
	.section	.bss,"aw",@nobits
	.globl	__hip_cuid_a38a9ffcbe0c2cfc
__hip_cuid_a38a9ffcbe0c2cfc:
	.byte	0                               ; 0x0
	.size	__hip_cuid_a38a9ffcbe0c2cfc, 1

	.ident	"AMD clang version 19.0.0git (https://github.com/RadeonOpenCompute/llvm-project roc-6.4.0 25133 c7fe45cf4b819c5991fe208aaa96edf142730f1d)"
	.section	".note.GNU-stack","",@progbits
	.addrsig
	.addrsig_sym __hip_cuid_a38a9ffcbe0c2cfc
	.amdgpu_metadata
---
amdhsa.kernels:
  - .args:
      - .actual_access:  read_only
        .address_space:  global
        .offset:         0
        .size:           8
        .value_kind:     global_buffer
      - .offset:         8
        .size:           8
        .value_kind:     by_value
      - .actual_access:  read_only
        .address_space:  global
        .offset:         16
        .size:           8
        .value_kind:     global_buffer
      - .actual_access:  read_only
        .address_space:  global
        .offset:         24
        .size:           8
        .value_kind:     global_buffer
      - .actual_access:  read_only
        .address_space:  global
        .offset:         32
        .size:           8
        .value_kind:     global_buffer
      - .offset:         40
        .size:           8
        .value_kind:     by_value
      - .actual_access:  read_only
        .address_space:  global
        .offset:         48
        .size:           8
        .value_kind:     global_buffer
      - .actual_access:  read_only
        .address_space:  global
        .offset:         56
        .size:           8
        .value_kind:     global_buffer
      - .offset:         64
        .size:           4
        .value_kind:     by_value
      - .actual_access:  read_only
        .address_space:  global
        .offset:         72
        .size:           8
        .value_kind:     global_buffer
      - .actual_access:  read_only
        .address_space:  global
        .offset:         80
        .size:           8
        .value_kind:     global_buffer
      - .actual_access:  read_only
        .address_space:  global
        .offset:         88
        .size:           8
        .value_kind:     global_buffer
      - .actual_access:  write_only
        .address_space:  global
        .offset:         96
        .size:           8
        .value_kind:     global_buffer
    .group_segment_fixed_size: 0
    .kernarg_segment_align: 8
    .kernarg_segment_size: 104
    .language:       OpenCL C
    .language_version:
      - 2
      - 0
    .max_flat_workgroup_size: 240
    .name:           fft_rtc_fwd_len1920_factors_10_6_16_2_wgs_240_tpt_120_halfLds_half_op_CI_CI_unitstride_sbrr_R2C_dirReg
    .private_segment_fixed_size: 0
    .sgpr_count:     29
    .sgpr_spill_count: 0
    .symbol:         fft_rtc_fwd_len1920_factors_10_6_16_2_wgs_240_tpt_120_halfLds_half_op_CI_CI_unitstride_sbrr_R2C_dirReg.kd
    .uniform_work_group_size: 1
    .uses_dynamic_stack: false
    .vgpr_count:     94
    .vgpr_spill_count: 0
    .wavefront_size: 32
    .workgroup_processor_mode: 1
amdhsa.target:   amdgcn-amd-amdhsa--gfx1030
amdhsa.version:
  - 1
  - 2
...

	.end_amdgpu_metadata
